;; amdgpu-corpus repo=ROCm/rocFFT kind=compiled arch=gfx950 opt=O3
	.text
	.amdgcn_target "amdgcn-amd-amdhsa--gfx950"
	.amdhsa_code_object_version 6
	.protected	fft_rtc_back_len4050_factors_10_5_3_3_3_3_wgs_135_tpt_135_halfLds_dp_op_CI_CI_unitstride_sbrr_dirReg ; -- Begin function fft_rtc_back_len4050_factors_10_5_3_3_3_3_wgs_135_tpt_135_halfLds_dp_op_CI_CI_unitstride_sbrr_dirReg
	.globl	fft_rtc_back_len4050_factors_10_5_3_3_3_3_wgs_135_tpt_135_halfLds_dp_op_CI_CI_unitstride_sbrr_dirReg
	.p2align	8
	.type	fft_rtc_back_len4050_factors_10_5_3_3_3_3_wgs_135_tpt_135_halfLds_dp_op_CI_CI_unitstride_sbrr_dirReg,@function
fft_rtc_back_len4050_factors_10_5_3_3_3_3_wgs_135_tpt_135_halfLds_dp_op_CI_CI_unitstride_sbrr_dirReg: ; @fft_rtc_back_len4050_factors_10_5_3_3_3_3_wgs_135_tpt_135_halfLds_dp_op_CI_CI_unitstride_sbrr_dirReg
; %bb.0:
	s_load_dwordx4 s[4:7], s[0:1], 0x58
	s_load_dwordx4 s[8:11], s[0:1], 0x0
	;; [unrolled: 1-line block ×3, first 2 shown]
	v_mul_u32_u24_e32 v1, 0x1e6, v0
	v_add_u32_sdwa v6, s2, v1 dst_sel:DWORD dst_unused:UNUSED_PAD src0_sel:DWORD src1_sel:WORD_1
	v_mov_b32_e32 v2, 0
	s_waitcnt lgkmcnt(0)
	v_cmp_lt_u64_e64 s[2:3], s[10:11], 2
	v_mov_b32_e32 v7, v2
	s_and_b64 vcc, exec, s[2:3]
	v_mov_b64_e32 v[4:5], 0
	s_cbranch_vccnz .LBB0_8
; %bb.1:
	s_load_dwordx2 s[2:3], s[0:1], 0x10
	s_add_u32 s16, s14, 8
	s_addc_u32 s17, s15, 0
	s_add_u32 s18, s12, 8
	s_addc_u32 s19, s13, 0
	s_waitcnt lgkmcnt(0)
	s_add_u32 s20, s2, 8
	v_mov_b64_e32 v[4:5], 0
	s_addc_u32 s21, s3, 0
	s_mov_b64 s[22:23], 1
	v_mov_b64_e32 v[136:137], v[4:5]
.LBB0_2:                                ; =>This Inner Loop Header: Depth=1
	s_load_dwordx2 s[24:25], s[20:21], 0x0
                                        ; implicit-def: $vgpr138_vgpr139
	s_waitcnt lgkmcnt(0)
	v_or_b32_e32 v3, s25, v7
	v_cmp_ne_u64_e32 vcc, 0, v[2:3]
	s_and_saveexec_b64 s[2:3], vcc
	s_xor_b64 s[26:27], exec, s[2:3]
	s_cbranch_execz .LBB0_4
; %bb.3:                                ;   in Loop: Header=BB0_2 Depth=1
	v_cvt_f32_u32_e32 v1, s24
	v_cvt_f32_u32_e32 v3, s25
	s_sub_u32 s2, 0, s24
	s_subb_u32 s3, 0, s25
	v_fmac_f32_e32 v1, 0x4f800000, v3
	v_rcp_f32_e32 v1, v1
	s_nop 0
	v_mul_f32_e32 v1, 0x5f7ffffc, v1
	v_mul_f32_e32 v3, 0x2f800000, v1
	v_trunc_f32_e32 v3, v3
	v_fmac_f32_e32 v1, 0xcf800000, v3
	v_cvt_u32_f32_e32 v3, v3
	v_cvt_u32_f32_e32 v1, v1
	v_mul_lo_u32 v8, s2, v3
	v_mul_hi_u32 v10, s2, v1
	v_mul_lo_u32 v9, s3, v1
	v_add_u32_e32 v10, v10, v8
	v_mul_lo_u32 v12, s2, v1
	v_add_u32_e32 v13, v10, v9
	v_mul_hi_u32 v8, v1, v12
	v_mul_hi_u32 v11, v1, v13
	v_mul_lo_u32 v10, v1, v13
	v_mov_b32_e32 v9, v2
	v_lshl_add_u64 v[8:9], v[8:9], 0, v[10:11]
	v_mul_hi_u32 v11, v3, v12
	v_mul_lo_u32 v12, v3, v12
	v_add_co_u32_e32 v8, vcc, v8, v12
	v_mul_hi_u32 v10, v3, v13
	s_nop 0
	v_addc_co_u32_e32 v8, vcc, v9, v11, vcc
	v_mov_b32_e32 v9, v2
	s_nop 0
	v_addc_co_u32_e32 v11, vcc, 0, v10, vcc
	v_mul_lo_u32 v10, v3, v13
	v_lshl_add_u64 v[8:9], v[8:9], 0, v[10:11]
	v_add_co_u32_e32 v1, vcc, v1, v8
	v_mul_lo_u32 v10, s2, v1
	s_nop 0
	v_addc_co_u32_e32 v3, vcc, v3, v9, vcc
	v_mul_lo_u32 v8, s2, v3
	v_mul_hi_u32 v9, s2, v1
	v_add_u32_e32 v8, v9, v8
	v_mul_lo_u32 v9, s3, v1
	v_add_u32_e32 v12, v8, v9
	v_mul_hi_u32 v14, v3, v10
	v_mul_lo_u32 v15, v3, v10
	v_mul_hi_u32 v9, v1, v12
	v_mul_lo_u32 v8, v1, v12
	v_mul_hi_u32 v10, v1, v10
	v_mov_b32_e32 v11, v2
	v_lshl_add_u64 v[8:9], v[10:11], 0, v[8:9]
	v_add_co_u32_e32 v8, vcc, v8, v15
	v_mul_hi_u32 v13, v3, v12
	s_nop 0
	v_addc_co_u32_e32 v8, vcc, v9, v14, vcc
	v_mul_lo_u32 v10, v3, v12
	s_nop 0
	v_addc_co_u32_e32 v11, vcc, 0, v13, vcc
	v_mov_b32_e32 v9, v2
	v_lshl_add_u64 v[8:9], v[8:9], 0, v[10:11]
	v_add_co_u32_e32 v1, vcc, v1, v8
	v_mul_hi_u32 v10, v6, v1
	s_nop 0
	v_addc_co_u32_e32 v3, vcc, v3, v9, vcc
	v_mad_u64_u32 v[8:9], s[2:3], v6, v3, 0
	v_mov_b32_e32 v11, v2
	v_lshl_add_u64 v[8:9], v[10:11], 0, v[8:9]
	v_mad_u64_u32 v[12:13], s[2:3], v7, v1, 0
	v_add_co_u32_e32 v1, vcc, v8, v12
	v_mad_u64_u32 v[10:11], s[2:3], v7, v3, 0
	s_nop 0
	v_addc_co_u32_e32 v8, vcc, v9, v13, vcc
	v_mov_b32_e32 v9, v2
	s_nop 0
	v_addc_co_u32_e32 v11, vcc, 0, v11, vcc
	v_lshl_add_u64 v[8:9], v[8:9], 0, v[10:11]
	v_mul_lo_u32 v1, s25, v8
	v_mul_lo_u32 v3, s24, v9
	v_mad_u64_u32 v[10:11], s[2:3], s24, v8, 0
	v_add3_u32 v1, v11, v3, v1
	v_sub_u32_e32 v3, v7, v1
	v_mov_b32_e32 v11, s25
	v_sub_co_u32_e32 v14, vcc, v6, v10
	v_lshl_add_u64 v[12:13], v[8:9], 0, 1
	s_nop 0
	v_subb_co_u32_e64 v3, s[2:3], v3, v11, vcc
	v_subrev_co_u32_e64 v10, s[2:3], s24, v14
	v_subb_co_u32_e32 v1, vcc, v7, v1, vcc
	s_nop 0
	v_subbrev_co_u32_e64 v3, s[2:3], 0, v3, s[2:3]
	v_cmp_le_u32_e64 s[2:3], s25, v3
	v_cmp_le_u32_e32 vcc, s25, v1
	s_nop 0
	v_cndmask_b32_e64 v11, 0, -1, s[2:3]
	v_cmp_le_u32_e64 s[2:3], s24, v10
	s_nop 1
	v_cndmask_b32_e64 v10, 0, -1, s[2:3]
	v_cmp_eq_u32_e64 s[2:3], s25, v3
	s_nop 1
	v_cndmask_b32_e64 v3, v11, v10, s[2:3]
	v_lshl_add_u64 v[10:11], v[8:9], 0, 2
	v_cmp_ne_u32_e64 s[2:3], 0, v3
	s_nop 1
	v_cndmask_b32_e64 v3, v13, v11, s[2:3]
	v_cndmask_b32_e64 v11, 0, -1, vcc
	v_cmp_le_u32_e32 vcc, s24, v14
	s_nop 1
	v_cndmask_b32_e64 v13, 0, -1, vcc
	v_cmp_eq_u32_e32 vcc, s25, v1
	s_nop 1
	v_cndmask_b32_e32 v1, v11, v13, vcc
	v_cmp_ne_u32_e32 vcc, 0, v1
	v_cndmask_b32_e64 v1, v12, v10, s[2:3]
	s_nop 0
	v_cndmask_b32_e32 v139, v9, v3, vcc
	v_cndmask_b32_e32 v138, v8, v1, vcc
.LBB0_4:                                ;   in Loop: Header=BB0_2 Depth=1
	s_andn2_saveexec_b64 s[2:3], s[26:27]
	s_cbranch_execz .LBB0_6
; %bb.5:                                ;   in Loop: Header=BB0_2 Depth=1
	v_cvt_f32_u32_e32 v1, s24
	s_sub_i32 s26, 0, s24
	v_mov_b32_e32 v139, v2
	v_rcp_iflag_f32_e32 v1, v1
	s_nop 0
	v_mul_f32_e32 v1, 0x4f7ffffe, v1
	v_cvt_u32_f32_e32 v1, v1
	v_mul_lo_u32 v3, s26, v1
	v_mul_hi_u32 v3, v1, v3
	v_add_u32_e32 v1, v1, v3
	v_mul_hi_u32 v1, v6, v1
	v_mul_lo_u32 v3, v1, s24
	v_sub_u32_e32 v3, v6, v3
	v_add_u32_e32 v8, 1, v1
	v_subrev_u32_e32 v9, s24, v3
	v_cmp_le_u32_e32 vcc, s24, v3
	s_nop 1
	v_cndmask_b32_e32 v3, v3, v9, vcc
	v_cndmask_b32_e32 v1, v1, v8, vcc
	v_add_u32_e32 v8, 1, v1
	v_cmp_le_u32_e32 vcc, s24, v3
	s_nop 1
	v_cndmask_b32_e32 v138, v1, v8, vcc
.LBB0_6:                                ;   in Loop: Header=BB0_2 Depth=1
	s_or_b64 exec, exec, s[2:3]
	v_mad_u64_u32 v[8:9], s[2:3], v138, s24, 0
	s_load_dwordx2 s[2:3], s[18:19], 0x0
	v_mul_lo_u32 v1, v139, s24
	v_mul_lo_u32 v3, v138, s25
	s_load_dwordx2 s[24:25], s[16:17], 0x0
	s_add_u32 s22, s22, 1
	v_add3_u32 v1, v9, v3, v1
	v_sub_co_u32_e32 v3, vcc, v6, v8
	s_addc_u32 s23, s23, 0
	s_nop 0
	v_subb_co_u32_e32 v1, vcc, v7, v1, vcc
	s_add_u32 s16, s16, 8
	s_waitcnt lgkmcnt(0)
	v_mul_lo_u32 v6, s2, v1
	v_mul_lo_u32 v7, s3, v3
	v_mad_u64_u32 v[4:5], s[2:3], s2, v3, v[4:5]
	s_addc_u32 s17, s17, 0
	v_add3_u32 v5, v7, v5, v6
	v_mul_lo_u32 v1, s24, v1
	v_mul_lo_u32 v6, s25, v3
	v_mad_u64_u32 v[136:137], s[2:3], s24, v3, v[136:137]
	s_add_u32 s18, s18, 8
	v_add3_u32 v137, v6, v137, v1
	s_addc_u32 s19, s19, 0
	v_mov_b64_e32 v[6:7], s[10:11]
	s_add_u32 s20, s20, 8
	v_cmp_ge_u64_e32 vcc, s[22:23], v[6:7]
	s_addc_u32 s21, s21, 0
	s_cbranch_vccnz .LBB0_9
; %bb.7:                                ;   in Loop: Header=BB0_2 Depth=1
	v_mov_b64_e32 v[6:7], v[138:139]
	s_branch .LBB0_2
.LBB0_8:
	v_mov_b64_e32 v[136:137], v[4:5]
	v_mov_b64_e32 v[138:139], v[6:7]
.LBB0_9:
	s_load_dwordx2 s[18:19], s[0:1], 0x28
	s_lshl_b64 s[16:17], s[10:11], 3
	s_add_u32 s2, s14, s16
	s_addc_u32 s3, s15, s17
                                        ; implicit-def: $vgpr178
	s_waitcnt lgkmcnt(0)
	v_cmp_gt_u64_e64 s[0:1], s[18:19], v[138:139]
	v_cmp_le_u64_e32 vcc, s[18:19], v[138:139]
	s_and_saveexec_b64 s[10:11], vcc
	s_xor_b64 s[10:11], exec, s[10:11]
; %bb.10:
	s_mov_b32 s14, 0x1e573ad
	v_mul_hi_u32 v1, v0, s14
	v_mul_u32_u24_e32 v1, 0x87, v1
	v_sub_u32_e32 v178, v0, v1
                                        ; implicit-def: $vgpr0
                                        ; implicit-def: $vgpr4_vgpr5
; %bb.11:
	s_or_saveexec_b64 s[10:11], s[10:11]
                                        ; implicit-def: $vgpr50_vgpr51
                                        ; implicit-def: $vgpr54_vgpr55
                                        ; implicit-def: $vgpr42_vgpr43
                                        ; implicit-def: $vgpr46_vgpr47
                                        ; implicit-def: $vgpr34_vgpr35
                                        ; implicit-def: $vgpr38_vgpr39
                                        ; implicit-def: $vgpr74_vgpr75
                                        ; implicit-def: $vgpr30_vgpr31
                                        ; implicit-def: $vgpr26_vgpr27
                                        ; implicit-def: $vgpr22_vgpr23
                                        ; implicit-def: $vgpr18_vgpr19
                                        ; implicit-def: $vgpr70_vgpr71
                                        ; implicit-def: $vgpr66_vgpr67
                                        ; implicit-def: $vgpr62_vgpr63
                                        ; implicit-def: $vgpr58_vgpr59
                                        ; implicit-def: $vgpr10_vgpr11
                                        ; implicit-def: $vgpr78_vgpr79
                                        ; implicit-def: $vgpr6_vgpr7
                                        ; implicit-def: $vgpr14_vgpr15
                                        ; implicit-def: $vgpr2_vgpr3
                                        ; implicit-def: $vgpr102_vgpr103
                                        ; implicit-def: $vgpr118_vgpr119
                                        ; implicit-def: $vgpr106_vgpr107
                                        ; implicit-def: $vgpr114_vgpr115
                                        ; implicit-def: $vgpr110_vgpr111
                                        ; implicit-def: $vgpr90_vgpr91
                                        ; implicit-def: $vgpr98_vgpr99
                                        ; implicit-def: $vgpr86_vgpr87
                                        ; implicit-def: $vgpr94_vgpr95
                                        ; implicit-def: $vgpr82_vgpr83
	s_xor_b64 exec, exec, s[10:11]
	s_cbranch_execz .LBB0_13
; %bb.12:
	s_add_u32 s12, s12, s16
	s_addc_u32 s13, s13, s17
	s_load_dwordx2 s[12:13], s[12:13], 0x0
	s_mov_b32 s14, 0x1e573ad
	s_waitcnt lgkmcnt(0)
	v_mul_lo_u32 v1, s13, v138
	v_mul_lo_u32 v6, s12, v139
	v_mad_u64_u32 v[2:3], s[12:13], s12, v138, 0
	v_add3_u32 v3, v3, v6, v1
	v_mul_hi_u32 v1, v0, s14
	v_mul_u32_u24_e32 v1, 0x87, v1
	v_sub_u32_e32 v178, v0, v1
	v_lshl_add_u64 v[0:1], v[2:3], 4, s[4:5]
	v_lshl_add_u64 v[0:1], v[4:5], 4, v[0:1]
	v_lshlrev_b32_e32 v2, 4, v178
	v_mov_b32_e32 v3, 0
	v_lshl_add_u64 v[20:21], v[0:1], 0, v[2:3]
	s_movk_i32 s4, 0x1000
	v_add_co_u32_e32 v40, vcc, s4, v20
	s_movk_i32 s4, 0x3000
	s_nop 0
	v_addc_co_u32_e32 v41, vcc, 0, v21, vcc
	v_add_co_u32_e32 v8, vcc, s4, v20
	s_movk_i32 s4, 0x4000
	s_nop 0
	v_addc_co_u32_e32 v9, vcc, 0, v21, vcc
	;; [unrolled: 4-line block ×4, first 2 shown]
	v_add_co_u32_e32 v44, vcc, s4, v20
	s_mov_b32 s4, 0x9000
	s_nop 0
	v_addc_co_u32_e32 v45, vcc, 0, v21, vcc
	v_add_co_u32_e32 v46, vcc, s4, v20
	s_mov_b32 s4, 0xb000
	s_nop 0
	v_addc_co_u32_e32 v47, vcc, 0, v21, vcc
	;; [unrolled: 4-line block ×4, first 2 shown]
	v_add_co_u32_e32 v52, vcc, s4, v20
	s_movk_i32 s4, 0x2000
	s_nop 0
	v_addc_co_u32_e32 v53, vcc, 0, v21, vcc
	v_add_co_u32_e32 v54, vcc, s4, v20
	s_movk_i32 s4, 0x5000
	s_nop 0
	v_addc_co_u32_e32 v55, vcc, 0, v21, vcc
	v_add_co_u32_e32 v64, vcc, s4, v20
	s_mov_b32 s4, 0x8000
	s_nop 0
	v_addc_co_u32_e32 v65, vcc, 0, v21, vcc
	v_add_co_u32_e32 v66, vcc, s4, v20
	s_mov_b32 s4, 0xa000
	;; [unrolled: 4-line block ×3, first 2 shown]
	s_nop 0
	v_addc_co_u32_e32 v121, vcc, 0, v21, vcc
	v_add_co_u32_e32 v122, vcc, s4, v20
	global_load_dwordx4 v[80:83], v[20:21], off
	global_load_dwordx4 v[0:3], v[20:21], off offset:2160
	v_addc_co_u32_e32 v123, vcc, 0, v21, vcc
	v_add_co_u32_e32 v124, vcc, 0xf000, v20
	global_load_dwordx4 v[84:87], v[8:9], off offset:672
	global_load_dwordx4 v[4:7], v[8:9], off offset:2832
	;; [unrolled: 1-line block ×3, first 2 shown]
	s_nop 0
	global_load_dwordx4 v[8:11], v[12:13], off offset:3504
	s_nop 0
	global_load_dwordx4 v[12:15], v[54:55], off offset:448
	global_load_dwordx4 v[16:19], v[52:53], off offset:3136
	v_addc_co_u32_e32 v125, vcc, 0, v21, vcc
	global_load_dwordx4 v[92:95], v[40:41], off offset:2384
	global_load_dwordx4 v[20:23], v[40:41], off offset:224
	;; [unrolled: 1-line block ×15, first 2 shown]
                                        ; kill: killed $vgpr46 killed $vgpr47
                                        ; kill: killed $vgpr44 killed $vgpr45
                                        ; kill: killed $vgpr42 killed $vgpr43
                                        ; kill: killed $vgpr66 killed $vgpr67
                                        ; kill: killed $vgpr64 killed $vgpr65
                                        ; kill: killed $vgpr40 killed $vgpr41
                                        ; kill: killed $vgpr54 killed $vgpr55
                                        ; kill: killed $vgpr52 killed $vgpr53
	global_load_dwordx4 v[116:119], v[50:51], off offset:2688
	global_load_dwordx4 v[64:67], v[48:49], off offset:2464
	;; [unrolled: 1-line block ×5, first 2 shown]
                                        ; kill: killed $vgpr50 killed $vgpr51
                                        ; kill: killed $vgpr48 killed $vgpr49
                                        ; kill: killed $vgpr120 killed $vgpr121
	global_load_dwordx4 v[52:55], v[122:123], off offset:2912
	s_nop 0
	global_load_dwordx4 v[48:51], v[124:125], off offset:1200
.LBB0_13:
	s_or_b64 exec, exec, s[10:11]
	s_waitcnt vmcnt(27)
	v_add_f64 v[120:121], v[84:85], v[80:81]
	v_add_f64 v[122:123], v[86:87], v[82:83]
	s_waitcnt vmcnt(25)
	v_add_f64 v[120:121], v[88:89], v[120:121]
	v_add_f64 v[122:123], v[90:91], v[122:123]
	s_waitcnt vmcnt(9)
	v_add_f64 v[124:125], v[112:113], v[88:89]
	v_add_f64 v[128:129], v[84:85], -v[88:89]
	v_add_f64 v[130:131], v[88:89], -v[84:85]
	;; [unrolled: 1-line block ×3, first 2 shown]
	v_add_f64 v[88:89], v[112:113], v[120:121]
	v_add_f64 v[120:121], v[114:115], v[122:123]
	v_add_f64 v[126:127], v[90:91], -v[114:115]
	v_add_f64 v[132:133], v[114:115], v[90:91]
	v_add_f64 v[140:141], v[86:87], -v[90:91]
	v_add_f64 v[90:91], v[90:91], -v[86:87]
	s_waitcnt vmcnt(6)
	v_add_f64 v[142:143], v[86:87], -v[118:119]
	v_add_f64 v[144:145], v[116:117], v[84:85]
	v_add_f64 v[84:85], v[84:85], -v[116:117]
	v_add_f64 v[86:87], v[118:119], v[86:87]
	v_add_f64 v[122:123], v[116:117], -v[112:113]
	v_add_f64 v[146:147], v[112:113], -v[116:117]
	;; [unrolled: 1-line block ×4, first 2 shown]
	v_add_f64 v[88:89], v[116:117], v[88:89]
	v_add_f64 v[112:113], v[118:119], v[120:121]
	;; [unrolled: 1-line block ×7, first 2 shown]
	v_add_f64 v[150:151], v[110:111], -v[106:107]
	v_add_f64 v[152:153], v[96:97], -v[108:109]
	;; [unrolled: 1-line block ×3, first 2 shown]
	v_add_f64 v[156:157], v[106:107], v[110:111]
	v_add_f64 v[108:109], v[108:109], -v[104:105]
	v_add_f64 v[158:159], v[98:99], -v[110:111]
	v_add_f64 v[110:111], v[110:111], -v[98:99]
	v_add_f64 v[160:161], v[98:99], -v[102:103]
	v_add_f64 v[98:99], v[102:103], v[98:99]
	v_add_f64 v[116:117], v[104:105], v[116:117]
	;; [unrolled: 1-line block ×3, first 2 shown]
	v_add_f64 v[164:165], v[100:101], -v[104:105]
	v_add_f64 v[104:105], v[104:105], -v[100:101]
	s_mov_b32 s14, 0x134454ff
	v_add_f64 v[162:163], v[100:101], v[96:97]
	v_add_f64 v[166:167], v[102:103], -v[106:107]
	v_add_f64 v[106:107], v[106:107], -v[102:103]
	v_add_f64 v[118:119], v[102:103], v[118:119]
	v_add_f64 v[102:103], v[104:105], v[154:155]
	v_fma_f64 v[104:105], -0.5, v[156:157], v[94:95]
	v_fmac_f64_e32 v[94:95], -0.5, v[98:99]
	s_mov_b32 s15, 0xbfee6f0e
	s_mov_b32 s10, 0x4755a5e
	;; [unrolled: 1-line block ×4, first 2 shown]
	v_add_f64 v[96:97], v[96:97], -v[100:101]
	v_add_f64 v[116:117], v[100:101], v[116:117]
	v_fma_f64 v[100:101], -0.5, v[120:121], v[92:93]
	v_fmac_f64_e32 v[92:93], -0.5, v[162:163]
	v_add_f64 v[98:99], v[106:107], v[110:111]
	s_mov_b32 s11, 0xbfe2cf23
	s_mov_b32 s4, 0x372fe950
	v_fma_f64 v[110:111], s[14:15], v[108:109], v[94:95]
	v_fmac_f64_e32 v[94:95], s[16:17], v[108:109]
	s_mov_b32 s5, 0x3fd3c6ef
	s_mov_b32 s13, 0x3fe2cf23
	;; [unrolled: 1-line block ×3, first 2 shown]
	v_fma_f64 v[106:107], s[16:17], v[150:151], v[92:93]
	v_fmac_f64_e32 v[92:93], s[14:15], v[150:151]
	v_fmac_f64_e32 v[94:95], s[10:11], v[96:97]
	;; [unrolled: 1-line block ×4, first 2 shown]
	s_mov_b32 s19, 0xbfd3c6ef
	s_mov_b32 s18, s4
	v_fmac_f64_e32 v[92:93], s[4:5], v[102:103]
	v_mul_f64 v[120:121], v[94:95], s[14:15]
	v_mul_f64 v[154:155], v[94:95], s[18:19]
	v_fmac_f64_e32 v[120:121], s[18:19], v[92:93]
	v_fmac_f64_e32 v[154:155], s[16:17], v[92:93]
	v_add_f64 v[92:93], v[122:123], v[128:129]
	v_fma_f64 v[122:123], -0.5, v[124:125], v[80:81]
	v_fma_f64 v[94:95], s[14:15], v[142:143], v[122:123]
	v_fmac_f64_e32 v[122:123], s[16:17], v[142:143]
	v_fmac_f64_e32 v[80:81], -0.5, v[144:145]
	v_fmac_f64_e32 v[94:95], s[10:11], v[126:127]
	v_fmac_f64_e32 v[122:123], s[12:13], v[126:127]
	v_fma_f64 v[124:125], s[16:17], v[126:127], v[80:81]
	v_fmac_f64_e32 v[80:81], s[14:15], v[126:127]
	v_fmac_f64_e32 v[94:95], s[4:5], v[92:93]
	;; [unrolled: 1-line block ×3, first 2 shown]
	v_add_f64 v[92:93], v[146:147], v[130:131]
	v_fmac_f64_e32 v[124:125], s[10:11], v[142:143]
	v_fmac_f64_e32 v[80:81], s[12:13], v[142:143]
	v_fmac_f64_e32 v[124:125], s[4:5], v[92:93]
	v_fmac_f64_e32 v[80:81], s[4:5], v[92:93]
	v_add_f64 v[92:93], v[148:149], v[140:141]
	v_fma_f64 v[140:141], -0.5, v[132:133], v[82:83]
	v_fmac_f64_e32 v[82:83], -0.5, v[86:87]
	v_add_f64 v[86:87], v[114:115], v[90:91]
	v_fma_f64 v[114:115], s[14:15], v[134:135], v[82:83]
	v_fmac_f64_e32 v[82:83], s[16:17], v[134:135]
	v_fmac_f64_e32 v[114:115], s[12:13], v[84:85]
	;; [unrolled: 1-line block ×5, first 2 shown]
	v_fma_f64 v[86:87], s[14:15], v[160:161], v[100:101]
	v_fmac_f64_e32 v[100:101], s[16:17], v[160:161]
	v_fma_f64 v[128:129], s[16:17], v[84:85], v[140:141]
	v_fmac_f64_e32 v[140:141], s[14:15], v[84:85]
	v_add_f64 v[84:85], v[164:165], v[152:153]
	v_fmac_f64_e32 v[86:87], s[10:11], v[150:151]
	v_fmac_f64_e32 v[100:101], s[12:13], v[150:151]
	v_fma_f64 v[90:91], s[16:17], v[96:97], v[104:105]
	v_fmac_f64_e32 v[86:87], s[4:5], v[84:85]
	v_fmac_f64_e32 v[100:101], s[4:5], v[84:85]
	v_add_f64 v[84:85], v[166:167], v[158:159]
	v_fmac_f64_e32 v[90:91], s[12:13], v[108:109]
	v_fmac_f64_e32 v[104:105], s[14:15], v[96:97]
	;; [unrolled: 1-line block ×3, first 2 shown]
	s_mov_b32 s20, 0x9b97f4a8
	v_fmac_f64_e32 v[106:107], s[10:11], v[160:161]
	v_fmac_f64_e32 v[104:105], s[10:11], v[108:109]
	;; [unrolled: 1-line block ×4, first 2 shown]
	s_mov_b32 s21, 0x3fe9e377
	v_mul_f64 v[108:109], v[86:87], s[12:13]
	v_fmac_f64_e32 v[106:107], s[4:5], v[102:103]
	v_fmac_f64_e32 v[104:105], s[4:5], v[84:85]
	v_mul_f64 v[84:85], v[90:91], s[10:11]
	v_fmac_f64_e32 v[108:109], s[20:21], v[90:91]
	v_mul_f64 v[90:91], v[110:111], s[14:15]
	;; [unrolled: 2-line block ×4, first 2 shown]
	s_mov_b32 s23, 0xbfe9e377
	s_mov_b32 s22, s20
	v_fmac_f64_e32 v[128:129], s[12:13], v[134:135]
	v_fmac_f64_e32 v[140:141], s[10:11], v[134:135]
	v_fmac_f64_e32 v[84:85], s[20:21], v[86:87]
	v_fmac_f64_e32 v[110:111], s[22:23], v[100:101]
	v_mul_f64 v[104:105], v[104:105], s[22:23]
	v_fmac_f64_e32 v[128:129], s[4:5], v[92:93]
	v_fmac_f64_e32 v[140:141], s[4:5], v[92:93]
	;; [unrolled: 1-line block ×3, first 2 shown]
	v_add_f64 v[96:97], v[116:117], v[88:89]
	v_add_f64 v[98:99], v[94:95], v[84:85]
	v_add_f64 v[84:85], v[94:95], -v[84:85]
	v_add_f64 v[86:87], v[124:125], -v[90:91]
	v_add_f64 v[100:101], v[124:125], v[90:91]
	v_add_f64 v[94:95], v[88:89], -v[116:117]
	v_add_f64 v[92:93], v[122:123], v[110:111]
	;; [unrolled: 2-line block ×3, first 2 shown]
	v_add_f64 v[116:117], v[82:83], -v[154:155]
	v_mul_u32_u24_e32 v82, 10, v178
	v_lshl_add_u32 v173, v82, 3, 0
	v_add_f64 v[82:83], v[60:61], v[8:9]
	ds_write_b128 v173, v[96:99]
	v_fma_f64 v[96:97], -0.5, v[82:83], v[0:1]
	ds_write_b128 v173, v[92:95] offset:32
	v_add_f64 v[82:83], v[4:5], -v[8:9]
	s_waitcnt vmcnt(2)
	v_add_f64 v[92:93], v[68:69], -v[60:61]
	v_add_f64 v[92:93], v[92:93], v[82:83]
	v_add_f64 v[82:83], v[76:77], v[12:13]
	;; [unrolled: 1-line block ×5, first 2 shown]
	ds_write_b128 v173, v[84:87] offset:48
	v_add_f64 v[82:83], v[76:77], -v[56:57]
	v_add_f64 v[84:85], v[16:17], -v[64:65]
	v_add_f64 v[86:87], v[84:85], v[82:83]
	v_add_f64 v[82:83], v[64:65], v[56:57]
	v_add_f64 v[88:89], v[80:81], -v[120:121]
	v_fma_f64 v[156:157], -0.5, v[82:83], v[12:13]
	v_add_f64 v[82:83], v[78:79], -v[58:59]
	v_add_f64 v[84:85], v[18:19], -v[66:67]
	ds_write_b128 v173, v[88:91] offset:64
	v_add_f64 v[88:89], v[84:85], v[82:83]
	v_add_f64 v[82:83], v[66:67], v[58:59]
	;; [unrolled: 1-line block ×4, first 2 shown]
	v_add_f64 v[126:127], v[114:115], -v[106:107]
	v_fma_f64 v[160:161], -0.5, v[82:83], v[14:15]
	v_add_f64 v[106:107], v[76:77], -v[16:17]
	v_add_f64 v[124:125], v[128:129], -v[108:109]
	v_add_f64 v[134:135], v[128:129], v[108:109]
	v_add_f64 v[90:91], v[78:79], -v[18:19]
	v_fma_f64 v[162:163], s[16:17], v[106:107], v[160:161]
	v_add_f64 v[108:109], v[56:57], -v[64:65]
	v_add_f64 v[132:133], v[118:119], v[112:113]
	v_add_f64 v[130:131], v[112:113], -v[118:119]
	v_add_f64 v[128:129], v[140:141], v[104:105]
	v_add_f64 v[118:119], v[140:141], -v[104:105]
	v_add_f64 v[80:81], v[4:5], v[0:1]
	v_add_f64 v[98:99], v[6:7], -v[70:71]
	v_fma_f64 v[158:159], s[14:15], v[90:91], v[156:157]
	v_add_f64 v[104:105], v[58:59], -v[66:67]
	v_fmac_f64_e32 v[162:163], s[12:13], v[108:109]
	v_add_f64 v[80:81], v[8:9], v[80:81]
	ds_write_b128 v173, v[100:103] offset:16
	v_fma_f64 v[100:101], s[14:15], v[98:99], v[96:97]
	v_add_f64 v[102:103], v[10:11], -v[62:63]
	v_fmac_f64_e32 v[158:159], s[10:11], v[104:105]
	v_fmac_f64_e32 v[162:163], s[4:5], v[88:89]
	v_add_f64 v[80:81], v[60:61], v[80:81]
	v_fmac_f64_e32 v[100:101], s[10:11], v[102:103]
	v_fmac_f64_e32 v[158:159], s[4:5], v[86:87]
	v_mul_f64 v[110:111], v[162:163], s[10:11]
	v_add_u32_e32 v187, 0x87, v178
	v_add_f64 v[80:81], v[68:69], v[80:81]
	v_fmac_f64_e32 v[100:101], s[4:5], v[92:93]
	v_fmac_f64_e32 v[110:111], s[20:21], v[158:159]
	v_mul_u32_u24_e32 v112, 10, v187
	v_add_f64 v[82:83], v[94:95], v[80:81]
	v_add_f64 v[84:85], v[100:101], v[110:111]
	v_lshl_add_u32 v179, v112, 3, 0
	ds_write_b128 v179, v[82:85]
	v_add_f64 v[82:83], v[68:69], v[4:5]
	v_fmac_f64_e32 v[0:1], -0.5, v[82:83]
	v_add_f64 v[82:83], v[8:9], -v[4:5]
	v_add_f64 v[84:85], v[60:61], -v[68:69]
	v_add_f64 v[82:83], v[84:85], v[82:83]
	v_fma_f64 v[84:85], s[16:17], v[102:103], v[0:1]
	v_fmac_f64_e32 v[0:1], s[14:15], v[102:103]
	v_fmac_f64_e32 v[84:85], s[10:11], v[98:99]
	;; [unrolled: 1-line block ×5, first 2 shown]
	v_add_f64 v[82:83], v[16:17], v[76:77]
	v_fmac_f64_e32 v[12:13], -0.5, v[82:83]
	v_add_f64 v[56:57], v[56:57], -v[76:77]
	v_add_f64 v[16:17], v[64:65], -v[16:17]
	v_add_f64 v[56:57], v[16:17], v[56:57]
	v_fma_f64 v[16:17], s[16:17], v[104:105], v[12:13]
	v_fmac_f64_e32 v[12:13], s[14:15], v[104:105]
	v_fmac_f64_e32 v[16:17], s[10:11], v[90:91]
	;; [unrolled: 1-line block ×5, first 2 shown]
	v_add_f64 v[56:57], v[18:19], v[78:79]
	v_add_f64 v[64:65], v[78:79], v[14:15]
	v_fmac_f64_e32 v[14:15], -0.5, v[56:57]
	v_add_f64 v[56:57], v[58:59], -v[78:79]
	v_add_f64 v[76:77], v[66:67], -v[18:19]
	v_add_f64 v[76:77], v[76:77], v[56:57]
	v_fma_f64 v[56:57], s[14:15], v[108:109], v[14:15]
	v_fmac_f64_e32 v[14:15], s[16:17], v[108:109]
	v_fmac_f64_e32 v[56:57], s[12:13], v[106:107]
	;; [unrolled: 1-line block ×5, first 2 shown]
	v_mul_f64 v[82:83], v[56:57], s[14:15]
	v_add_f64 v[76:77], v[100:101], -v[110:111]
	v_mul_f64 v[100:101], v[14:15], s[14:15]
	v_fmac_f64_e32 v[160:161], s[14:15], v[106:107]
	v_fmac_f64_e32 v[82:83], s[4:5], v[16:17]
	;; [unrolled: 1-line block ×5, first 2 shown]
	v_add_f64 v[78:79], v[84:85], -v[82:83]
	v_add_f64 v[82:83], v[84:85], v[82:83]
	v_add_f64 v[84:85], v[0:1], v[100:101]
	v_fmac_f64_e32 v[96:97], s[16:17], v[98:99]
	v_fmac_f64_e32 v[156:157], s[12:13], v[104:105]
	;; [unrolled: 1-line block ×3, first 2 shown]
	ds_write_b128 v179, v[82:85] offset:16
	v_fmac_f64_e32 v[96:97], s[12:13], v[102:103]
	v_fmac_f64_e32 v[156:157], s[4:5], v[86:87]
	v_mul_f64 v[84:85], v[160:161], s[10:11]
	v_fmac_f64_e32 v[96:97], s[4:5], v[92:93]
	v_fmac_f64_e32 v[84:85], s[22:23], v[156:157]
	v_add_f64 v[82:83], v[80:81], -v[94:95]
	v_add_f64 v[80:81], v[96:97], v[84:85]
	ds_write_b128 v179, v[80:83] offset:32
	v_add_f64 v[82:83], v[96:97], -v[84:85]
	v_add_f64 v[80:81], v[0:1], -v[100:101]
	;; [unrolled: 1-line block ×3, first 2 shown]
	s_waitcnt vmcnt(1)
	v_add_f64 v[84:85], v[52:53], -v[44:45]
	v_add_f64 v[84:85], v[84:85], v[0:1]
	ds_write_b128 v179, v[76:79] offset:48
	v_add_f64 v[0:1], v[72:73], -v[32:33]
	s_waitcnt vmcnt(0)
	v_add_f64 v[76:77], v[48:49], -v[40:41]
	v_add_f64 v[86:87], v[76:77], v[0:1]
	v_add_f64 v[0:1], v[28:29], v[20:21]
	;; [unrolled: 1-line block ×5, first 2 shown]
	v_add_f64 v[0:1], v[74:75], -v[34:35]
	v_add_f64 v[76:77], v[50:51], -v[42:43]
	ds_write_b128 v179, v[80:83] offset:64
	v_add_f64 v[80:81], v[76:77], v[0:1]
	v_add_f64 v[0:1], v[44:45], v[36:37]
	v_fma_f64 v[82:83], -0.5, v[0:1], v[20:21]
	v_add_f64 v[0:1], v[72:73], v[24:25]
	v_add_f64 v[0:1], v[32:33], v[0:1]
	;; [unrolled: 1-line block ×6, first 2 shown]
	v_fma_f64 v[166:167], -0.5, v[76:77], v[26:27]
	v_add_f64 v[102:103], v[72:73], -v[48:49]
	v_fma_f64 v[0:1], -0.5, v[0:1], v[24:25]
	v_add_f64 v[98:99], v[74:75], -v[50:51]
	v_fma_f64 v[168:169], s[16:17], v[102:103], v[166:167]
	v_add_f64 v[104:105], v[32:33], -v[40:41]
	v_add_f64 v[90:91], v[30:31], -v[54:55]
	v_fma_f64 v[164:165], s[14:15], v[98:99], v[0:1]
	v_add_f64 v[100:101], v[34:35], -v[42:43]
	v_fmac_f64_e32 v[168:169], s[12:13], v[104:105]
	v_fma_f64 v[92:93], s[14:15], v[90:91], v[82:83]
	v_add_f64 v[94:95], v[38:39], -v[46:47]
	v_fmac_f64_e32 v[164:165], s[10:11], v[100:101]
	v_fmac_f64_e32 v[168:169], s[4:5], v[80:81]
	;; [unrolled: 1-line block ×4, first 2 shown]
	v_mul_f64 v[106:107], v[168:169], s[10:11]
	v_add_u32_e32 v190, 0x10e, v178
	v_fmac_f64_e32 v[92:93], s[4:5], v[84:85]
	v_fmac_f64_e32 v[106:107], s[20:21], v[164:165]
	v_mul_u32_u24_e32 v108, 10, v190
	v_add_f64 v[76:77], v[96:97], v[88:89]
	v_add_f64 v[78:79], v[92:93], v[106:107]
	v_lshl_add_u32 v180, v108, 3, 0
	ds_write_b128 v180, v[76:79]
	v_add_f64 v[76:77], v[52:53], v[28:29]
	v_fmac_f64_e32 v[20:21], -0.5, v[76:77]
	v_add_f64 v[76:77], v[36:37], -v[28:29]
	v_add_f64 v[78:79], v[44:45], -v[52:53]
	v_add_f64 v[76:77], v[78:79], v[76:77]
	v_fma_f64 v[78:79], s[16:17], v[94:95], v[20:21]
	v_fmac_f64_e32 v[20:21], s[14:15], v[94:95]
	v_fmac_f64_e32 v[78:79], s[10:11], v[90:91]
	;; [unrolled: 1-line block ×5, first 2 shown]
	v_add_f64 v[76:77], v[48:49], v[72:73]
	v_fmac_f64_e32 v[24:25], -0.5, v[76:77]
	v_add_f64 v[32:33], v[32:33], -v[72:73]
	v_add_f64 v[40:41], v[40:41], -v[48:49]
	v_add_f64 v[32:33], v[40:41], v[32:33]
	v_fma_f64 v[40:41], s[16:17], v[100:101], v[24:25]
	v_fmac_f64_e32 v[24:25], s[14:15], v[100:101]
	v_fmac_f64_e32 v[40:41], s[10:11], v[98:99]
	;; [unrolled: 1-line block ×3, first 2 shown]
	v_add_f64 v[48:49], v[50:51], v[74:75]
	v_fmac_f64_e32 v[40:41], s[4:5], v[32:33]
	v_fmac_f64_e32 v[24:25], s[4:5], v[32:33]
	v_add_f64 v[32:33], v[74:75], v[26:27]
	v_fmac_f64_e32 v[26:27], -0.5, v[48:49]
	v_add_f64 v[48:49], v[34:35], -v[74:75]
	v_add_f64 v[72:73], v[42:43], -v[50:51]
	v_fma_f64 v[176:177], s[14:15], v[104:105], v[26:27]
	v_add_f64 v[48:49], v[72:73], v[48:49]
	v_fmac_f64_e32 v[176:177], s[12:13], v[102:103]
	v_fmac_f64_e32 v[26:27], s[16:17], v[104:105]
	;; [unrolled: 1-line block ×5, first 2 shown]
	v_mul_f64 v[48:49], v[176:177], s[14:15]
	v_fmac_f64_e32 v[166:167], s[14:15], v[102:103]
	v_fmac_f64_e32 v[48:49], s[4:5], v[40:41]
	;; [unrolled: 1-line block ×4, first 2 shown]
	v_add_f64 v[74:75], v[78:79], -v[48:49]
	v_add_f64 v[76:77], v[78:79], v[48:49]
	v_mul_f64 v[48:49], v[26:27], s[14:15]
	v_fmac_f64_e32 v[82:83], s[16:17], v[90:91]
	v_fmac_f64_e32 v[0:1], s[12:13], v[100:101]
	;; [unrolled: 1-line block ×6, first 2 shown]
	v_mul_f64 v[80:81], v[166:167], s[10:11]
	v_add_f64 v[78:79], v[20:21], v[48:49]
	v_fmac_f64_e32 v[82:83], s[4:5], v[84:85]
	v_fmac_f64_e32 v[80:81], s[22:23], v[0:1]
	v_add_f64 v[72:73], v[92:93], -v[106:107]
	ds_write_b128 v180, v[76:79] offset:16
	v_add_f64 v[78:79], v[88:89], -v[96:97]
	v_add_f64 v[76:77], v[82:83], v[80:81]
	s_movk_i32 s24, 0xffb8
	ds_write_b128 v180, v[76:79] offset:32
	ds_write_b128 v180, v[72:75] offset:48
	v_add_f64 v[74:75], v[82:83], -v[80:81]
	v_add_f64 v[72:73], v[20:21], -v[48:49]
	v_mad_i32_i24 v181, v178, s24, v173
	v_add_u32_e32 v188, 0x2a3, v178
	v_add_u32_e32 v191, 0x32a, v178
	;; [unrolled: 1-line block ×4, first 2 shown]
	v_add_f64 v[58:59], v[58:59], v[64:65]
	ds_write_b128 v180, v[72:75] offset:64
	s_load_dwordx2 s[2:3], s[2:3], 0x0
	s_waitcnt lgkmcnt(0)
	s_barrier
	v_lshl_add_u32 v184, v191, 3, 0
	v_add_u32_e32 v196, 0x2c00, v181
	v_add_u32_e32 v195, 0x4400, v181
	;; [unrolled: 1-line block ×3, first 2 shown]
	v_mad_i32_i24 v192, v187, s24, v179
	v_add_u32_e32 v48, 0x1c00, v181
	v_add_u32_e32 v172, 0x3400, v181
	;; [unrolled: 1-line block ×4, first 2 shown]
	v_mad_i32_i24 v193, v190, s24, v180
	v_lshl_add_u32 v183, v182, 3, 0
	v_add_u32_e32 v174, 0x2400, v181
	v_add_u32_e32 v199, 0x3c00, v181
	;; [unrolled: 1-line block ×4, first 2 shown]
	v_lshl_add_u32 v185, v186, 3, 0
	v_lshl_add_u32 v189, v188, 3, 0
	ds_read_b64 v[150:151], v181
	ds_read_b64 v[142:143], v185
	;; [unrolled: 1-line block ×7, first 2 shown]
	ds_read_b64 v[152:153], v181 offset:31320
	ds_read2_b64 v[80:83], v196 offset0:77 offset1:212
	ds_read2_b64 v[76:79], v195 offset0:119 offset1:254
	;; [unrolled: 1-line block ×11, first 2 shown]
	s_waitcnt lgkmcnt(0)
	s_barrier
	ds_write_b128 v173, v[132:135]
	ds_write_b128 v173, v[120:123] offset:16
	ds_write_b128 v173, v[128:131] offset:32
	;; [unrolled: 1-line block ×4, first 2 shown]
	v_add_f64 v[116:117], v[62:63], v[10:11]
	v_add_f64 v[58:59], v[66:67], v[58:59]
	v_add_f64 v[20:21], v[6:7], v[2:3]
	v_add_f64 v[8:9], v[8:9], -v[60:61]
	v_add_f64 v[60:61], v[6:7], -v[10:11]
	;; [unrolled: 1-line block ×4, first 2 shown]
	v_add_f64 v[18:19], v[18:19], v[58:59]
	v_mul_f64 v[14:15], v[14:15], s[18:19]
	v_fma_f64 v[58:59], -0.5, v[116:117], v[2:3]
	v_add_f64 v[20:21], v[10:11], v[20:21]
	v_add_f64 v[10:11], v[10:11], -v[6:7]
	v_add_f64 v[6:7], v[70:71], v[6:7]
	v_fmac_f64_e32 v[14:15], s[16:17], v[12:13]
	v_add_f64 v[12:13], v[68:69], v[60:61]
	v_fma_f64 v[60:61], s[16:17], v[4:5], v[58:59]
	v_fmac_f64_e32 v[58:59], s[14:15], v[4:5]
	v_add_f64 v[20:21], v[62:63], v[20:21]
	v_add_f64 v[62:63], v[62:63], -v[70:71]
	v_fmac_f64_e32 v[60:61], s[12:13], v[8:9]
	v_fmac_f64_e32 v[58:59], s[10:11], v[8:9]
	v_fmac_f64_e32 v[2:3], -0.5, v[6:7]
	v_fmac_f64_e32 v[60:61], s[4:5], v[12:13]
	v_fmac_f64_e32 v[58:59], s[4:5], v[12:13]
	v_add_f64 v[6:7], v[62:63], v[10:11]
	v_fma_f64 v[10:11], s[14:15], v[8:9], v[2:3]
	v_fmac_f64_e32 v[2:3], s[16:17], v[8:9]
	v_mul_f64 v[12:13], v[16:17], s[16:17]
	v_fmac_f64_e32 v[10:11], s[12:13], v[4:5]
	v_fmac_f64_e32 v[2:3], s[10:11], v[4:5]
	v_mul_f64 v[8:9], v[158:159], s[12:13]
	v_fmac_f64_e32 v[12:13], s[4:5], v[56:57]
	v_mul_f64 v[56:57], v[160:161], s[22:23]
	v_add_f64 v[20:21], v[70:71], v[20:21]
	v_fmac_f64_e32 v[10:11], s[4:5], v[6:7]
	v_fmac_f64_e32 v[2:3], s[4:5], v[6:7]
	;; [unrolled: 1-line block ×4, first 2 shown]
	v_add_f64 v[4:5], v[2:3], v[14:15]
	v_add_f64 v[6:7], v[2:3], -v[14:15]
	v_add_f64 v[2:3], v[10:11], v[12:13]
	v_add_f64 v[12:13], v[10:11], -v[12:13]
	v_add_f64 v[10:11], v[60:61], -v[8:9]
	v_add_f64 v[16:17], v[60:61], v[8:9]
	v_add_f64 v[14:15], v[18:19], v[20:21]
	v_add_f64 v[20:21], v[20:21], -v[18:19]
	v_add_f64 v[18:19], v[58:59], v[56:57]
	v_add_f64 v[8:9], v[58:59], -v[56:57]
	v_add_f64 v[56:57], v[30:31], v[22:23]
	v_add_f64 v[56:57], v[38:39], v[56:57]
	;; [unrolled: 1-line block ×3, first 2 shown]
	v_add_f64 v[36:37], v[36:37], -v[44:45]
	v_add_f64 v[44:45], v[30:31], -v[38:39]
	v_add_f64 v[28:29], v[28:29], -v[52:53]
	v_add_f64 v[52:53], v[46:47], v[56:57]
	v_add_f64 v[56:57], v[54:55], -v[46:47]
	v_mul_f64 v[26:27], v[26:27], s[18:19]
	v_fmac_f64_e32 v[26:27], s[16:17], v[24:25]
	v_add_f64 v[24:25], v[56:57], v[44:45]
	v_fma_f64 v[44:45], -0.5, v[58:59], v[22:23]
	v_add_f64 v[32:33], v[34:35], v[32:33]
	v_fma_f64 v[34:35], s[16:17], v[28:29], v[44:45]
	v_fmac_f64_e32 v[44:45], s[14:15], v[28:29]
	v_add_f64 v[38:39], v[38:39], -v[30:31]
	v_add_f64 v[46:47], v[46:47], -v[54:55]
	v_fmac_f64_e32 v[34:35], s[12:13], v[36:37]
	v_fmac_f64_e32 v[44:45], s[10:11], v[36:37]
	v_add_f64 v[30:31], v[54:55], v[30:31]
	v_fmac_f64_e32 v[34:35], s[4:5], v[24:25]
	v_fmac_f64_e32 v[44:45], s[4:5], v[24:25]
	v_add_f64 v[24:25], v[46:47], v[38:39]
	v_mul_f64 v[46:47], v[166:167], s[22:23]
	s_mov_b32 s18, 0xcccd
	v_fmac_f64_e32 v[22:23], -0.5, v[30:31]
	v_fmac_f64_e32 v[46:47], s[12:13], v[0:1]
	v_mul_u32_u24_sdwa v0, v187, s18 dst_sel:DWORD dst_unused:UNUSED_PAD src0_sel:WORD_0 src1_sel:DWORD
	v_add_f64 v[32:33], v[42:43], v[32:33]
	v_fma_f64 v[30:31], s[14:15], v[36:37], v[22:23]
	v_fmac_f64_e32 v[22:23], s[16:17], v[36:37]
	v_lshrrev_b32_e32 v121, 19, v0
	v_add_f64 v[42:43], v[50:51], v[32:33]
	v_fmac_f64_e32 v[30:31], s[12:13], v[28:29]
	v_fmac_f64_e32 v[22:23], s[10:11], v[28:29]
	v_mul_f64 v[28:29], v[164:165], s[12:13]
	v_mul_f64 v[32:33], v[40:41], s[16:17]
	v_mul_lo_u16_e32 v0, 10, v121
	v_add_f64 v[52:53], v[54:55], v[52:53]
	v_fmac_f64_e32 v[30:31], s[4:5], v[24:25]
	v_fmac_f64_e32 v[22:23], s[4:5], v[24:25]
	;; [unrolled: 1-line block ×4, first 2 shown]
	v_sub_u16_e32 v120, v187, v0
	v_add_f64 v[24:25], v[22:23], v[26:27]
	v_add_f64 v[26:27], v[22:23], -v[26:27]
	v_add_f64 v[22:23], v[30:31], v[32:33]
	v_add_f64 v[32:33], v[30:31], -v[32:33]
	v_add_f64 v[30:31], v[34:35], -v[28:29]
	v_add_f64 v[36:37], v[34:35], v[28:29]
	v_add_f64 v[34:35], v[42:43], v[52:53]
	v_add_f64 v[40:41], v[52:53], -v[42:43]
	v_add_f64 v[38:39], v[44:45], v[46:47]
	v_add_f64 v[28:29], v[44:45], -v[46:47]
	ds_write_b128 v179, v[14:17]
	ds_write_b128 v179, v[2:5] offset:16
	ds_write_b128 v179, v[18:21] offset:32
	;; [unrolled: 1-line block ×4, first 2 shown]
	ds_write_b128 v180, v[34:37]
	ds_write_b128 v180, v[22:25] offset:16
	ds_write_b128 v180, v[38:41] offset:32
	;; [unrolled: 1-line block ×4, first 2 shown]
	v_lshlrev_b32_e32 v8, 6, v120
	s_waitcnt lgkmcnt(0)
	s_barrier
	global_load_dwordx4 v[20:23], v8, s[8:9]
	v_mul_u32_u24_sdwa v0, v190, s18 dst_sel:DWORD dst_unused:UNUSED_PAD src0_sel:WORD_0 src1_sel:DWORD
	v_lshrrev_b32_e32 v123, 19, v0
	v_mul_lo_u16_e32 v0, 10, v123
	v_sub_u16_e32 v122, v190, v0
	v_lshlrev_b32_e32 v9, 6, v122
	global_load_dwordx4 v[28:31], v9, s[8:9]
	global_load_dwordx4 v[24:27], v8, s[8:9] offset:16
	global_load_dwordx4 v[16:19], v9, s[8:9] offset:16
	;; [unrolled: 1-line block ×5, first 2 shown]
                                        ; kill: killed $vgpr8
	s_nop 0
	global_load_dwordx4 v[8:11], v9, s[8:9] offset:48
	v_mul_u32_u24_sdwa v32, v182, s18 dst_sel:DWORD dst_unused:UNUSED_PAD src0_sel:WORD_0 src1_sel:DWORD
	v_lshrrev_b32_e32 v126, 19, v32
	v_mul_lo_u16_e32 v32, 10, v126
	v_sub_u16_e32 v127, v182, v32
	v_lshlrev_b32_e32 v56, 6, v127
	global_load_dwordx4 v[32:35], v56, s[8:9]
	v_mul_u32_u24_sdwa v36, v186, s18 dst_sel:DWORD dst_unused:UNUSED_PAD src0_sel:WORD_0 src1_sel:DWORD
	v_lshrrev_b32_e32 v129, 19, v36
	v_mul_lo_u16_e32 v36, 10, v129
	v_sub_u16_e32 v128, v186, v36
	v_lshlrev_b32_e32 v60, 6, v128
	global_load_dwordx4 v[36:39], v60, s[8:9]
	global_load_dwordx4 v[40:43], v56, s[8:9] offset:16
	global_load_dwordx4 v[44:47], v60, s[8:9] offset:16
	ds_read2_b64 v[116:119], v48 offset0:49 offset1:184
	global_load_dwordx4 v[48:51], v56, s[8:9] offset:32
	global_load_dwordx4 v[52:55], v60, s[8:9] offset:32
	s_movk_i32 s19, 0xcd
	ds_read2_b64 v[68:71], v172 offset0:91 offset1:226
	global_load_dwordx4 v[56:59], v56, s[8:9] offset:48
	s_nop 0
	global_load_dwordx4 v[60:63], v60, s[8:9] offset:48
	v_mul_lo_u16_sdwa v64, v178, s19 dst_sel:DWORD dst_unused:UNUSED_PAD src0_sel:BYTE_0 src1_sel:DWORD
	v_mul_u32_u24_sdwa v130, v188, s18 dst_sel:DWORD dst_unused:UNUSED_PAD src0_sel:WORD_0 src1_sel:DWORD
	v_lshrrev_b32_e32 v200, 19, v130
	v_mul_lo_u16_e32 v130, 10, v200
	v_sub_u16_e32 v201, v188, v130
	v_lshlrev_b32_e32 v165, 6, v201
	global_load_dwordx4 v[202:205], v165, s[8:9]
	global_load_dwordx4 v[210:213], v165, s[8:9] offset:48
	s_mov_b32 s18, 0x5040100
	s_movk_i32 s19, 0x190
	v_cmp_gt_u32_e32 vcc, 15, v178
	s_waitcnt vmcnt(16) lgkmcnt(1)
	v_mul_f64 v[130:131], v[118:119], v[30:31]
	v_mul_f64 v[124:125], v[116:117], v[22:23]
	v_fmac_f64_e32 v[124:125], v[112:113], v[20:21]
	v_mul_f64 v[22:23], v[112:113], v[22:23]
	v_lshrrev_b16_e32 v112, 11, v64
	v_mul_lo_u16_e32 v64, 10, v112
	v_sub_u16_e32 v113, v178, v64
	v_mov_b32_e32 v64, 6
	v_lshlrev_b32_sdwa v164, v64, v113 dst_sel:DWORD dst_unused:UNUSED_PAD src0_sel:DWORD src1_sel:BYTE_0
	global_load_dwordx4 v[64:67], v164, s[8:9] offset:16
	global_load_dwordx4 v[206:209], v164, s[8:9]
	v_fma_f64 v[132:133], v[116:117], v[20:21], -v[22:23]
	global_load_dwordx4 v[20:23], v164, s[8:9] offset:32
	v_mul_f64 v[30:31], v[114:115], v[30:31]
	v_fmac_f64_e32 v[130:131], v[114:115], v[28:29]
	s_waitcnt vmcnt(18) lgkmcnt(0)
	v_mul_f64 v[160:161], v[68:69], v[26:27]
	v_fma_f64 v[134:135], v[118:119], v[28:29], -v[30:31]
	global_load_dwordx4 v[28:31], v165, s[8:9] offset:16
	v_mul_f64 v[26:27], v[108:109], v[26:27]
	v_fmac_f64_e32 v[160:161], v[108:109], v[24:25]
	v_fma_f64 v[158:159], v[68:69], v[24:25], -v[26:27]
	global_load_dwordx4 v[24:27], v164, s[8:9] offset:48
	s_waitcnt vmcnt(19)
	v_mul_f64 v[156:157], v[70:71], v[18:19]
	v_fmac_f64_e32 v[156:157], v[110:111], v[16:17]
	v_mul_f64 v[18:19], v[110:111], v[18:19]
	global_load_dwordx4 v[108:111], v165, s[8:9] offset:32
	v_fma_f64 v[70:71], v[70:71], v[16:17], -v[18:19]
	ds_read2_b64 v[16:19], v170 offset0:47 offset1:182
	ds_read2_b64 v[114:117], v171 offset0:5 offset1:140
	s_waitcnt vmcnt(18) lgkmcnt(1)
	v_mul_f64 v[176:177], v[16:17], v[2:3]
	v_mul_f64 v[2:3], v[100:101], v[2:3]
	s_waitcnt lgkmcnt(0)
	v_mul_f64 v[172:173], v[114:115], v[6:7]
	v_fmac_f64_e32 v[176:177], v[100:101], v[0:1]
	v_fma_f64 v[166:167], v[16:17], v[0:1], -v[2:3]
	s_waitcnt vmcnt(17)
	v_mul_f64 v[0:1], v[106:107], v[14:15]
	v_fmac_f64_e32 v[172:173], v[104:105], v[4:5]
	v_mul_f64 v[6:7], v[104:105], v[6:7]
	v_fma_f64 v[104:105], v[116:117], v[12:13], -v[0:1]
	ds_read2_b64 v[0:3], v174 offset0:63 offset1:198
	v_fma_f64 v[162:163], v[114:115], v[4:5], -v[6:7]
	s_waitcnt vmcnt(16)
	v_mul_f64 v[4:5], v[102:103], v[10:11]
	v_fma_f64 v[164:165], v[18:19], v[8:9], -v[4:5]
	s_waitcnt vmcnt(15)
	v_mul_f64 v[4:5], v[96:97], v[34:35]
	s_waitcnt lgkmcnt(0)
	v_fma_f64 v[100:101], v[0:1], v[32:33], -v[4:5]
	ds_read2_b64 v[4:7], v199 offset0:105 offset1:240
	v_mul_f64 v[174:175], v[18:19], v[10:11]
	v_fmac_f64_e32 v[174:175], v[102:103], v[8:9]
	v_mul_f64 v[102:103], v[0:1], v[34:35]
	s_waitcnt vmcnt(14)
	v_mul_f64 v[0:1], v[98:99], v[38:39]
	v_fmac_f64_e32 v[102:103], v[96:97], v[32:33]
	v_mul_f64 v[96:97], v[2:3], v[38:39]
	v_fma_f64 v[68:69], v[2:3], v[36:37], -v[0:1]
	s_waitcnt vmcnt(13)
	v_mul_f64 v[0:1], v[92:93], v[42:43]
	v_fmac_f64_e32 v[96:97], v[98:99], v[36:37]
	s_waitcnt lgkmcnt(0)
	v_fma_f64 v[98:99], v[4:5], v[40:41], -v[0:1]
	ds_read2_b64 v[0:3], v198 offset0:19 offset1:154
	v_mul_f64 v[170:171], v[116:117], v[14:15]
	v_fmac_f64_e32 v[170:171], v[106:107], v[12:13]
	v_mul_f64 v[106:107], v[4:5], v[42:43]
	s_waitcnt vmcnt(12)
	v_mul_f64 v[4:5], v[94:95], v[46:47]
	v_fmac_f64_e32 v[106:107], v[92:93], v[40:41]
	v_mul_f64 v[92:93], v[6:7], v[46:47]
	v_fma_f64 v[42:43], v[6:7], v[44:45], -v[4:5]
	s_waitcnt vmcnt(11)
	v_mul_f64 v[4:5], v[88:89], v[50:51]
	v_fmac_f64_e32 v[92:93], v[94:95], v[44:45]
	s_waitcnt lgkmcnt(0)
	v_fma_f64 v[94:95], v[0:1], v[48:49], -v[4:5]
	ds_read2_b64 v[4:7], v197 offset0:61 offset1:196
	v_mul_f64 v[168:169], v[0:1], v[50:51]
	v_fmac_f64_e32 v[168:169], v[88:89], v[48:49]
	s_waitcnt vmcnt(10)
	v_mul_f64 v[88:89], v[2:3], v[54:55]
	v_mul_f64 v[0:1], v[90:91], v[54:55]
	v_fmac_f64_e32 v[88:89], v[90:91], v[52:53]
	v_fma_f64 v[44:45], v[2:3], v[52:53], -v[0:1]
	s_waitcnt vmcnt(9) lgkmcnt(0)
	v_mul_f64 v[90:91], v[4:5], v[58:59]
	v_mul_f64 v[0:1], v[84:85], v[58:59]
	v_fmac_f64_e32 v[90:91], v[84:85], v[56:57]
	v_fma_f64 v[84:85], v[4:5], v[56:57], -v[0:1]
	ds_read2_b64 v[2:5], v196 offset0:77 offset1:212
	s_waitcnt vmcnt(8)
	v_mul_f64 v[0:1], v[86:87], v[62:63]
	v_mul_f64 v[56:57], v[6:7], v[62:63]
	v_fma_f64 v[50:51], v[6:7], v[60:61], -v[0:1]
	s_waitcnt vmcnt(7)
	v_mul_f64 v[8:9], v[80:81], v[204:205]
	s_waitcnt lgkmcnt(0)
	v_mul_f64 v[48:49], v[2:3], v[204:205]
	v_fma_f64 v[40:41], v[2:3], v[202:203], -v[8:9]
	v_fmac_f64_e32 v[48:49], v[80:81], v[202:203]
	v_fmac_f64_e32 v[56:57], v[86:87], v[60:61]
	s_waitcnt vmcnt(5)
	v_mul_f64 v[0:1], v[4:5], v[66:67]
	v_mul_f64 v[6:7], v[82:83], v[66:67]
	v_fmac_f64_e32 v[0:1], v[82:83], v[64:65]
	v_fma_f64 v[82:83], v[4:5], v[64:65], -v[6:7]
	ds_read2_b64 v[4:7], v195 offset0:119 offset1:254
	s_waitcnt vmcnt(3)
	v_mul_f64 v[8:9], v[78:79], v[22:23]
	v_mul_f64 v[12:13], v[154:155], v[208:209]
	v_lshl_add_u32 v202, v178, 3, 0
	s_waitcnt vmcnt(2)
	v_mul_f64 v[10:11], v[76:77], v[30:31]
	s_waitcnt lgkmcnt(0)
	v_mul_f64 v[2:3], v[6:7], v[22:23]
	v_fmac_f64_e32 v[2:3], v[78:79], v[20:21]
	v_fma_f64 v[78:79], v[6:7], v[20:21], -v[8:9]
	ds_read2_b64 v[6:9], v194 offset0:33 offset1:168
	v_mul_f64 v[54:55], v[4:5], v[30:31]
	v_fma_f64 v[46:47], v[4:5], v[28:29], -v[10:11]
	s_waitcnt vmcnt(1)
	v_mul_f64 v[10:11], v[74:75], v[26:27]
	v_fmac_f64_e32 v[54:55], v[76:77], v[28:29]
	s_waitcnt lgkmcnt(0)
	v_mul_f64 v[4:5], v[8:9], v[26:27]
	v_fma_f64 v[76:77], v[8:9], v[24:25], -v[10:11]
	ds_read_b64 v[8:9], v184
	s_waitcnt vmcnt(0)
	v_mul_f64 v[58:59], v[6:7], v[110:111]
	v_mul_f64 v[10:11], v[72:73], v[110:111]
	v_fmac_f64_e32 v[58:59], v[72:73], v[108:109]
	v_fma_f64 v[52:53], v[6:7], v[108:109], -v[10:11]
	ds_read_b64 v[72:73], v183
	ds_read_b64 v[10:11], v181 offset:31320
	s_waitcnt lgkmcnt(2)
	v_mul_f64 v[6:7], v[8:9], v[208:209]
	v_fmac_f64_e32 v[4:5], v[74:75], v[24:25]
	v_fmac_f64_e32 v[6:7], v[154:155], v[206:207]
	v_fma_f64 v[80:81], v[8:9], v[206:207], -v[12:13]
	v_mul_f64 v[8:9], v[152:153], v[212:213]
	s_waitcnt lgkmcnt(0)
	v_mul_f64 v[66:67], v[10:11], v[212:213]
	v_fma_f64 v[62:63], v[10:11], v[210:211], -v[8:9]
	v_add_f64 v[8:9], v[6:7], -v[0:1]
	v_add_f64 v[10:11], v[4:5], -v[2:3]
	v_mov_b32_e32 v209, 3
	v_add_f64 v[8:9], v[8:9], v[10:11]
	v_mul_u32_u24_e32 v10, 0x190, v112
	v_lshlrev_b32_sdwa v11, v209, v113 dst_sel:DWORD dst_unused:UNUSED_PAD src0_sel:DWORD src1_sel:BYTE_0
	v_add_f64 v[12:13], v[0:1], v[2:3]
	v_fmac_f64_e32 v[66:67], v[152:153], v[210:211]
	v_add3_u32 v152, 0, v10, v11
	v_add_f64 v[10:11], v[150:151], v[6:7]
	v_fma_f64 v[12:13], -0.5, v[12:13], v[150:151]
	v_add_f64 v[14:15], v[80:81], -v[76:77]
	v_add_f64 v[10:11], v[10:11], v[0:1]
	v_fma_f64 v[16:17], s[14:15], v[14:15], v[12:13]
	v_add_f64 v[18:19], v[82:83], -v[78:79]
	v_add_f64 v[10:11], v[10:11], v[2:3]
	v_fmac_f64_e32 v[16:17], s[10:11], v[18:19]
	v_add_f64 v[10:11], v[10:11], v[4:5]
	v_fmac_f64_e32 v[16:17], s[4:5], v[8:9]
	ds_read_b64 v[154:155], v181
	ds_read_b64 v[60:61], v185
	;; [unrolled: 1-line block ×5, first 2 shown]
	s_waitcnt lgkmcnt(0)
	s_barrier
	ds_write2_b64 v152, v[10:11], v[16:17] offset1:10
	v_add_f64 v[10:11], v[6:7], v[4:5]
	v_fmac_f64_e32 v[150:151], -0.5, v[10:11]
	v_add_f64 v[10:11], v[0:1], -v[6:7]
	v_add_f64 v[16:17], v[2:3], -v[4:5]
	v_add_f64 v[10:11], v[10:11], v[16:17]
	v_fma_f64 v[16:17], s[16:17], v[18:19], v[150:151]
	v_fmac_f64_e32 v[150:151], s[14:15], v[18:19]
	v_fmac_f64_e32 v[12:13], s[16:17], v[14:15]
	;; [unrolled: 1-line block ×8, first 2 shown]
	v_add_f64 v[8:9], v[124:125], -v[160:161]
	v_add_f64 v[10:11], v[176:177], -v[172:173]
	v_add_f64 v[8:9], v[8:9], v[10:11]
	v_perm_b32 v10, v123, v121, s18
	v_pk_mul_lo_u16 v20, v10, s19 op_sel_hi:[1,0]
	ds_write_b64 v152, v[12:13] offset:320
	v_lshlrev_b32_e32 v10, 3, v120
	v_and_b32_e32 v11, 0xfff0, v20
	v_add_f64 v[12:13], v[160:161], v[172:173]
	v_add3_u32 v153, 0, v11, v10
	v_add_f64 v[10:11], v[148:149], v[124:125]
	v_fma_f64 v[12:13], -0.5, v[12:13], v[148:149]
	v_add_f64 v[14:15], v[132:133], -v[166:167]
	ds_write2_b64 v152, v[16:17], v[150:151] offset0:20 offset1:30
	v_add_f64 v[10:11], v[10:11], v[160:161]
	v_fma_f64 v[16:17], s[14:15], v[14:15], v[12:13]
	v_add_f64 v[18:19], v[158:159], -v[162:163]
	v_add_f64 v[10:11], v[10:11], v[172:173]
	v_fmac_f64_e32 v[16:17], s[10:11], v[18:19]
	v_add_f64 v[10:11], v[10:11], v[176:177]
	v_fmac_f64_e32 v[16:17], s[4:5], v[8:9]
	ds_write2_b64 v153, v[10:11], v[16:17] offset1:10
	v_add_f64 v[10:11], v[124:125], v[176:177]
	v_fmac_f64_e32 v[148:149], -0.5, v[10:11]
	v_add_f64 v[10:11], v[160:161], -v[124:125]
	v_add_f64 v[16:17], v[172:173], -v[176:177]
	v_add_f64 v[10:11], v[10:11], v[16:17]
	v_fma_f64 v[16:17], s[16:17], v[18:19], v[148:149]
	v_fmac_f64_e32 v[148:149], s[14:15], v[18:19]
	v_fmac_f64_e32 v[12:13], s[16:17], v[14:15]
	;; [unrolled: 1-line block ×8, first 2 shown]
	v_add_f64 v[8:9], v[130:131], -v[156:157]
	v_add_f64 v[10:11], v[174:175], -v[170:171]
	v_add_f64 v[8:9], v[8:9], v[10:11]
	ds_write_b64 v153, v[12:13] offset:320
	v_lshrrev_b32_e32 v10, 16, v20
	v_lshlrev_b32_e32 v11, 3, v122
	v_add_f64 v[12:13], v[156:157], v[170:171]
	v_add3_u32 v210, 0, v10, v11
	v_add_f64 v[10:11], v[146:147], v[130:131]
	v_fma_f64 v[12:13], -0.5, v[12:13], v[146:147]
	v_add_f64 v[14:15], v[134:135], -v[164:165]
	ds_write2_b64 v153, v[16:17], v[148:149] offset0:20 offset1:30
	v_add_f64 v[10:11], v[10:11], v[156:157]
	v_fma_f64 v[16:17], s[14:15], v[14:15], v[12:13]
	v_add_f64 v[18:19], v[70:71], -v[104:105]
	v_add_f64 v[10:11], v[10:11], v[170:171]
	v_fmac_f64_e32 v[16:17], s[10:11], v[18:19]
	v_add_f64 v[10:11], v[10:11], v[174:175]
	v_fmac_f64_e32 v[16:17], s[4:5], v[8:9]
	ds_write2_b64 v210, v[10:11], v[16:17] offset1:10
	v_add_f64 v[10:11], v[130:131], v[174:175]
	v_fmac_f64_e32 v[146:147], -0.5, v[10:11]
	v_add_f64 v[10:11], v[156:157], -v[130:131]
	v_add_f64 v[16:17], v[170:171], -v[174:175]
	v_add_f64 v[10:11], v[10:11], v[16:17]
	v_fma_f64 v[16:17], s[16:17], v[18:19], v[146:147]
	v_fmac_f64_e32 v[146:147], s[14:15], v[18:19]
	v_fmac_f64_e32 v[12:13], s[16:17], v[14:15]
	;; [unrolled: 1-line block ×8, first 2 shown]
	v_add_f64 v[8:9], v[102:103], -v[106:107]
	v_add_f64 v[10:11], v[90:91], -v[168:169]
	v_add_f64 v[8:9], v[8:9], v[10:11]
	v_perm_b32 v10, v129, v126, s18
	v_pk_mul_lo_u16 v20, v10, s19 op_sel_hi:[1,0]
	ds_write_b64 v210, v[12:13] offset:320
	v_lshlrev_b32_e32 v10, 3, v127
	v_and_b32_e32 v11, 0xfff0, v20
	v_add_f64 v[12:13], v[106:107], v[168:169]
	v_add3_u32 v211, 0, v11, v10
	v_add_f64 v[10:11], v[144:145], v[102:103]
	v_fma_f64 v[12:13], -0.5, v[12:13], v[144:145]
	v_add_f64 v[14:15], v[100:101], -v[84:85]
	ds_write2_b64 v210, v[16:17], v[146:147] offset0:20 offset1:30
	v_add_f64 v[10:11], v[10:11], v[106:107]
	v_fma_f64 v[16:17], s[14:15], v[14:15], v[12:13]
	v_add_f64 v[18:19], v[98:99], -v[94:95]
	v_add_f64 v[10:11], v[10:11], v[168:169]
	v_fmac_f64_e32 v[16:17], s[10:11], v[18:19]
	v_add_f64 v[10:11], v[10:11], v[90:91]
	v_fmac_f64_e32 v[16:17], s[4:5], v[8:9]
	ds_write2_b64 v211, v[10:11], v[16:17] offset1:10
	v_add_f64 v[10:11], v[102:103], v[90:91]
	v_fmac_f64_e32 v[144:145], -0.5, v[10:11]
	v_add_f64 v[10:11], v[106:107], -v[102:103]
	v_add_f64 v[16:17], v[168:169], -v[90:91]
	v_add_f64 v[10:11], v[10:11], v[16:17]
	v_fma_f64 v[16:17], s[16:17], v[18:19], v[144:145]
	v_fmac_f64_e32 v[144:145], s[14:15], v[18:19]
	v_fmac_f64_e32 v[12:13], s[16:17], v[14:15]
	;; [unrolled: 1-line block ×8, first 2 shown]
	v_add_f64 v[8:9], v[96:97], -v[92:93]
	v_add_f64 v[10:11], v[56:57], -v[88:89]
	v_add_f64 v[8:9], v[8:9], v[10:11]
	ds_write_b64 v211, v[12:13] offset:320
	v_lshrrev_b32_e32 v10, 16, v20
	v_lshlrev_b32_e32 v11, 3, v128
	v_add_f64 v[12:13], v[92:93], v[88:89]
	v_add3_u32 v212, 0, v10, v11
	v_add_f64 v[10:11], v[142:143], v[96:97]
	v_fma_f64 v[12:13], -0.5, v[12:13], v[142:143]
	v_add_f64 v[14:15], v[68:69], -v[50:51]
	ds_write2_b64 v211, v[16:17], v[144:145] offset0:20 offset1:30
	v_add_f64 v[10:11], v[10:11], v[92:93]
	v_fma_f64 v[16:17], s[14:15], v[14:15], v[12:13]
	v_add_f64 v[18:19], v[42:43], -v[44:45]
	v_add_f64 v[10:11], v[10:11], v[88:89]
	v_fmac_f64_e32 v[16:17], s[10:11], v[18:19]
	v_add_f64 v[10:11], v[10:11], v[56:57]
	v_fmac_f64_e32 v[16:17], s[4:5], v[8:9]
	ds_write2_b64 v212, v[10:11], v[16:17] offset1:10
	v_add_f64 v[10:11], v[96:97], v[56:57]
	v_fmac_f64_e32 v[142:143], -0.5, v[10:11]
	v_add_f64 v[10:11], v[92:93], -v[96:97]
	v_add_f64 v[16:17], v[88:89], -v[56:57]
	v_add_f64 v[10:11], v[10:11], v[16:17]
	v_fma_f64 v[16:17], s[16:17], v[18:19], v[142:143]
	v_fmac_f64_e32 v[142:143], s[14:15], v[18:19]
	v_fmac_f64_e32 v[12:13], s[16:17], v[14:15]
	;; [unrolled: 1-line block ×8, first 2 shown]
	v_add_f64 v[8:9], v[48:49], -v[54:55]
	v_add_f64 v[10:11], v[66:67], -v[58:59]
	v_add_f64 v[8:9], v[8:9], v[10:11]
	ds_write_b64 v212, v[12:13] offset:320
	v_mul_u32_u24_e32 v10, 0x190, v200
	v_lshlrev_b32_e32 v11, 3, v201
	v_add_f64 v[12:13], v[54:55], v[58:59]
	v_add3_u32 v213, 0, v10, v11
	v_add_f64 v[10:11], v[140:141], v[48:49]
	v_fma_f64 v[12:13], -0.5, v[12:13], v[140:141]
	v_add_f64 v[14:15], v[40:41], -v[62:63]
	ds_write2_b64 v212, v[16:17], v[142:143] offset0:20 offset1:30
	v_add_f64 v[10:11], v[10:11], v[54:55]
	v_fma_f64 v[16:17], s[14:15], v[14:15], v[12:13]
	v_add_f64 v[18:19], v[46:47], -v[52:53]
	v_add_f64 v[10:11], v[10:11], v[58:59]
	v_fmac_f64_e32 v[16:17], s[10:11], v[18:19]
	v_add_f64 v[10:11], v[10:11], v[66:67]
	v_fmac_f64_e32 v[16:17], s[4:5], v[8:9]
	ds_write2_b64 v213, v[10:11], v[16:17] offset1:10
	v_add_f64 v[10:11], v[48:49], v[66:67]
	v_add_f64 v[142:143], v[0:1], -v[2:3]
	v_add_f64 v[0:1], v[80:81], -v[82:83]
	;; [unrolled: 1-line block ×3, first 2 shown]
	v_fmac_f64_e32 v[140:141], -0.5, v[10:11]
	v_add_f64 v[10:11], v[54:55], -v[48:49]
	v_add_f64 v[16:17], v[58:59], -v[66:67]
	v_add_f64 v[144:145], v[0:1], v[2:3]
	v_add_f64 v[0:1], v[154:155], v[80:81]
	;; [unrolled: 1-line block ×3, first 2 shown]
	v_fma_f64 v[16:17], s[16:17], v[18:19], v[140:141]
	v_fmac_f64_e32 v[140:141], s[14:15], v[18:19]
	v_add_f64 v[0:1], v[0:1], v[82:83]
	v_fmac_f64_e32 v[16:17], s[10:11], v[14:15]
	v_fmac_f64_e32 v[140:141], s[12:13], v[14:15]
	v_add_f64 v[0:1], v[0:1], v[78:79]
	v_fmac_f64_e32 v[16:17], s[4:5], v[10:11]
	v_fmac_f64_e32 v[140:141], s[4:5], v[10:11]
	v_add_f64 v[146:147], v[0:1], v[76:77]
	v_add_f64 v[0:1], v[82:83], v[78:79]
	ds_write2_b64 v213, v[16:17], v[140:141] offset0:20 offset1:30
	v_add_f64 v[140:141], v[6:7], -v[4:5]
	v_fma_f64 v[148:149], -0.5, v[0:1], v[154:155]
	v_fmac_f64_e32 v[12:13], s[16:17], v[14:15]
	v_fma_f64 v[150:151], s[16:17], v[140:141], v[148:149]
	v_fmac_f64_e32 v[12:13], s[12:13], v[18:19]
	v_fmac_f64_e32 v[150:151], s[12:13], v[142:143]
	;; [unrolled: 1-line block ×4, first 2 shown]
	v_add_u32_e32 v208, 0x4bf, v178
	v_add_u32_e32 v207, 0x438, v178
	ds_write_b64 v213, v[12:13] offset:320
	s_waitcnt lgkmcnt(0)
	s_barrier
	v_lshl_add_u32 v203, v207, 3, 0
	v_lshl_add_u32 v204, v208, 3, 0
	v_add_u32_e32 v194, 0x2800, v181
	v_add_u32_e32 v195, 0x5400, v181
	v_add_u32_e32 v196, 0x3000, v181
	v_add_u32_e32 v197, 0x5c00, v181
	v_add_u32_e32 v198, 0x3800, v181
	v_add_u32_e32 v199, 0x6400, v181
	v_add_u32_e32 v200, 0x4000, v181
	v_add_u32_e32 v201, 0x6c00, v181
	v_add_u32_e32 v205, 0x4a00, v181
	v_add_u32_e32 v206, 0x7400, v181
	ds_read_b64 v[128:129], v181
	ds_read_b64 v[126:127], v192
	;; [unrolled: 1-line block ×7, first 2 shown]
	ds_read_b64 v[112:113], v202 offset:7560
	ds_read_b64 v[110:111], v203
	ds_read_b64 v[108:109], v204
	ds_read2_b64 v[36:39], v194 offset0:70 offset1:205
	ds_read2_b64 v[32:35], v195 offset0:12 offset1:147
	;; [unrolled: 1-line block ×10, first 2 shown]
	s_waitcnt lgkmcnt(0)
	s_barrier
	ds_write2_b64 v152, v[146:147], v[150:151] offset1:10
	v_add_f64 v[146:147], v[80:81], v[76:77]
	v_fmac_f64_e32 v[154:155], -0.5, v[146:147]
	v_add_f64 v[80:81], v[82:83], -v[80:81]
	v_add_f64 v[76:77], v[78:79], -v[76:77]
	v_fma_f64 v[78:79], s[14:15], v[142:143], v[154:155]
	v_fmac_f64_e32 v[154:155], s[16:17], v[142:143]
	v_add_f64 v[76:77], v[80:81], v[76:77]
	v_fmac_f64_e32 v[78:79], s[12:13], v[140:141]
	v_fmac_f64_e32 v[154:155], s[10:11], v[140:141]
	;; [unrolled: 1-line block ×4, first 2 shown]
	v_add_f64 v[76:77], v[124:125], -v[176:177]
	v_add_f64 v[80:81], v[132:133], -v[158:159]
	;; [unrolled: 1-line block ×3, first 2 shown]
	v_add_f64 v[124:125], v[158:159], v[162:163]
	v_add_f64 v[80:81], v[80:81], v[82:83]
	;; [unrolled: 1-line block ×3, first 2 shown]
	v_fma_f64 v[124:125], -0.5, v[124:125], v[86:87]
	ds_write2_b64 v152, v[78:79], v[154:155] offset0:20 offset1:30
	v_fmac_f64_e32 v[148:149], s[14:15], v[140:141]
	v_add_f64 v[78:79], v[160:161], -v[172:173]
	v_add_f64 v[82:83], v[82:83], v[158:159]
	v_fma_f64 v[140:141], s[16:17], v[76:77], v[124:125]
	v_fmac_f64_e32 v[148:149], s[10:11], v[142:143]
	v_add_f64 v[82:83], v[82:83], v[162:163]
	v_fmac_f64_e32 v[140:141], s[12:13], v[78:79]
	v_fmac_f64_e32 v[148:149], s[4:5], v[144:145]
	v_add_f64 v[82:83], v[82:83], v[166:167]
	v_fmac_f64_e32 v[140:141], s[4:5], v[80:81]
	ds_write_b64 v152, v[148:149] offset:320
	ds_write2_b64 v153, v[82:83], v[140:141] offset1:10
	v_add_f64 v[82:83], v[132:133], v[166:167]
	v_fmac_f64_e32 v[86:87], -0.5, v[82:83]
	v_add_f64 v[82:83], v[158:159], -v[132:133]
	v_add_f64 v[132:133], v[162:163], -v[166:167]
	v_add_f64 v[82:83], v[82:83], v[132:133]
	v_fma_f64 v[132:133], s[14:15], v[78:79], v[86:87]
	v_fmac_f64_e32 v[86:87], s[16:17], v[78:79]
	v_fmac_f64_e32 v[132:133], s[12:13], v[76:77]
	v_fmac_f64_e32 v[86:87], s[10:11], v[76:77]
	v_fmac_f64_e32 v[124:125], s[14:15], v[76:77]
	v_fmac_f64_e32 v[132:133], s[4:5], v[82:83]
	v_fmac_f64_e32 v[86:87], s[4:5], v[82:83]
	v_fmac_f64_e32 v[124:125], s[10:11], v[78:79]
	ds_write2_b64 v153, v[132:133], v[86:87] offset0:20 offset1:30
	v_fmac_f64_e32 v[124:125], s[4:5], v[80:81]
	v_add_f64 v[80:81], v[134:135], -v[70:71]
	v_add_f64 v[82:83], v[164:165], -v[104:105]
	v_add_f64 v[86:87], v[70:71], v[104:105]
	v_add_f64 v[76:77], v[130:131], -v[174:175]
	v_add_f64 v[80:81], v[80:81], v[82:83]
	v_add_f64 v[82:83], v[74:75], v[134:135]
	v_fma_f64 v[86:87], -0.5, v[86:87], v[74:75]
	ds_write_b64 v153, v[124:125] offset:320
	v_add_f64 v[78:79], v[156:157], -v[170:171]
	v_add_f64 v[82:83], v[82:83], v[70:71]
	v_fma_f64 v[124:125], s[16:17], v[76:77], v[86:87]
	v_add_f64 v[82:83], v[82:83], v[104:105]
	v_fmac_f64_e32 v[124:125], s[12:13], v[78:79]
	v_add_f64 v[82:83], v[82:83], v[164:165]
	v_fmac_f64_e32 v[124:125], s[4:5], v[80:81]
	ds_write2_b64 v210, v[82:83], v[124:125] offset1:10
	v_add_f64 v[82:83], v[134:135], v[164:165]
	v_fmac_f64_e32 v[74:75], -0.5, v[82:83]
	v_add_f64 v[70:71], v[70:71], -v[134:135]
	v_add_f64 v[82:83], v[104:105], -v[164:165]
	v_fmac_f64_e32 v[86:87], s[14:15], v[76:77]
	v_add_f64 v[70:71], v[70:71], v[82:83]
	v_fma_f64 v[82:83], s[14:15], v[78:79], v[74:75]
	v_fmac_f64_e32 v[74:75], s[16:17], v[78:79]
	v_fmac_f64_e32 v[86:87], s[10:11], v[78:79]
	;; [unrolled: 1-line block ×5, first 2 shown]
	v_add_f64 v[76:77], v[100:101], -v[98:99]
	v_add_f64 v[78:79], v[84:85], -v[94:95]
	v_add_f64 v[80:81], v[98:99], v[94:95]
	v_fmac_f64_e32 v[82:83], s[4:5], v[70:71]
	v_fmac_f64_e32 v[74:75], s[4:5], v[70:71]
	v_add_f64 v[70:71], v[102:103], -v[90:91]
	v_add_f64 v[76:77], v[76:77], v[78:79]
	v_add_f64 v[78:79], v[72:73], v[100:101]
	v_fma_f64 v[80:81], -0.5, v[80:81], v[72:73]
	ds_write2_b64 v210, v[82:83], v[74:75] offset0:20 offset1:30
	v_add_f64 v[74:75], v[106:107], -v[168:169]
	v_add_f64 v[78:79], v[78:79], v[98:99]
	v_fma_f64 v[82:83], s[16:17], v[70:71], v[80:81]
	v_add_f64 v[78:79], v[78:79], v[94:95]
	v_fmac_f64_e32 v[82:83], s[12:13], v[74:75]
	v_add_f64 v[78:79], v[78:79], v[84:85]
	v_fmac_f64_e32 v[82:83], s[4:5], v[76:77]
	ds_write_b64 v210, v[86:87] offset:320
	ds_write2_b64 v211, v[78:79], v[82:83] offset1:10
	v_add_f64 v[78:79], v[100:101], v[84:85]
	v_fmac_f64_e32 v[72:73], -0.5, v[78:79]
	v_add_f64 v[78:79], v[98:99], -v[100:101]
	v_add_f64 v[82:83], v[94:95], -v[84:85]
	v_add_f64 v[78:79], v[78:79], v[82:83]
	v_fma_f64 v[82:83], s[14:15], v[74:75], v[72:73]
	v_fmac_f64_e32 v[72:73], s[16:17], v[74:75]
	v_fmac_f64_e32 v[82:83], s[12:13], v[70:71]
	;; [unrolled: 1-line block ×6, first 2 shown]
	ds_write2_b64 v211, v[82:83], v[72:73] offset0:20 offset1:30
	v_fmac_f64_e32 v[80:81], s[10:11], v[74:75]
	v_add_f64 v[72:73], v[68:69], -v[42:43]
	v_add_f64 v[74:75], v[50:51], -v[44:45]
	v_add_f64 v[72:73], v[72:73], v[74:75]
	v_add_f64 v[74:75], v[42:43], v[44:45]
	v_add_f64 v[56:57], v[96:97], -v[56:57]
	v_fma_f64 v[74:75], -0.5, v[74:75], v[60:61]
	v_fmac_f64_e32 v[80:81], s[4:5], v[76:77]
	v_add_f64 v[70:71], v[92:93], -v[88:89]
	v_fma_f64 v[76:77], s[16:17], v[56:57], v[74:75]
	v_fmac_f64_e32 v[74:75], s[14:15], v[56:57]
	v_fmac_f64_e32 v[76:77], s[12:13], v[70:71]
	;; [unrolled: 1-line block ×5, first 2 shown]
	v_add_f64 v[72:73], v[60:61], v[68:69]
	v_add_f64 v[78:79], v[68:69], v[50:51]
	;; [unrolled: 1-line block ×3, first 2 shown]
	v_fmac_f64_e32 v[60:61], -0.5, v[78:79]
	v_add_f64 v[42:43], v[42:43], -v[68:69]
	v_add_f64 v[68:69], v[72:73], v[44:45]
	v_add_f64 v[44:45], v[44:45], -v[50:51]
	v_add_f64 v[42:43], v[42:43], v[44:45]
	v_fma_f64 v[44:45], s[14:15], v[70:71], v[60:61]
	v_fmac_f64_e32 v[60:61], s[16:17], v[70:71]
	v_fmac_f64_e32 v[44:45], s[12:13], v[56:57]
	;; [unrolled: 1-line block ×3, first 2 shown]
	v_add_f64 v[68:69], v[68:69], v[50:51]
	v_fmac_f64_e32 v[44:45], s[4:5], v[42:43]
	v_fmac_f64_e32 v[60:61], s[4:5], v[42:43]
	v_add_f64 v[42:43], v[48:49], -v[66:67]
	v_add_f64 v[48:49], v[54:55], -v[58:59]
	;; [unrolled: 1-line block ×4, first 2 shown]
	v_add_f64 v[50:51], v[50:51], v[54:55]
	v_add_f64 v[54:55], v[46:47], v[52:53]
	v_fma_f64 v[54:55], -0.5, v[54:55], v[64:65]
	v_fma_f64 v[56:57], s[16:17], v[42:43], v[54:55]
	v_fmac_f64_e32 v[54:55], s[14:15], v[42:43]
	v_fmac_f64_e32 v[56:57], s[12:13], v[48:49]
	;; [unrolled: 1-line block ×5, first 2 shown]
	v_add_f64 v[50:51], v[64:65], v[40:41]
	v_add_f64 v[50:51], v[50:51], v[46:47]
	;; [unrolled: 1-line block ×3, first 2 shown]
	v_add_f64 v[40:41], v[46:47], -v[40:41]
	v_add_f64 v[46:47], v[50:51], v[52:53]
	v_add_f64 v[50:51], v[52:53], -v[62:63]
	v_mov_b32_e32 v52, 41
	v_fmac_f64_e32 v[64:65], -0.5, v[58:59]
	v_mul_lo_u16_sdwa v52, v178, v52 dst_sel:DWORD dst_unused:UNUSED_PAD src0_sel:BYTE_0 src1_sel:DWORD
	v_lshrrev_b16_e32 v158, 11, v52
	v_add_f64 v[40:41], v[40:41], v[50:51]
	v_fma_f64 v[50:51], s[14:15], v[48:49], v[64:65]
	v_fmac_f64_e32 v[64:65], s[16:17], v[48:49]
	v_mul_lo_u16_e32 v48, 50, v158
	v_fmac_f64_e32 v[50:51], s[12:13], v[42:43]
	v_fmac_f64_e32 v[64:65], s[10:11], v[42:43]
	v_add_f64 v[46:47], v[46:47], v[62:63]
	v_sub_u16_e32 v159, v178, v48
	v_mov_b32_e32 v48, 5
	v_fmac_f64_e32 v[50:51], s[4:5], v[40:41]
	v_fmac_f64_e32 v[64:65], s[4:5], v[40:41]
	ds_write_b64 v211, v[80:81] offset:320
	ds_write2_b64 v212, v[68:69], v[76:77] offset1:10
	ds_write2_b64 v212, v[44:45], v[60:61] offset0:20 offset1:30
	ds_write_b64 v212, v[74:75] offset:320
	ds_write2_b64 v213, v[46:47], v[56:57] offset1:10
	ds_write2_b64 v213, v[50:51], v[64:65] offset0:20 offset1:30
	ds_write_b64 v213, v[54:55] offset:320
	v_lshrrev_b16_e32 v44, 1, v187
	v_lshlrev_b32_sdwa v58, v48, v159 dst_sel:DWORD dst_unused:UNUSED_PAD src0_sel:DWORD src1_sel:BYTE_0
	v_mul_u32_u24_e32 v44, 0x147b, v44
	s_waitcnt lgkmcnt(0)
	s_barrier
	global_load_dwordx4 v[40:43], v58, s[8:9] offset:640
	v_lshrrev_b32_e32 v175, 17, v44
	v_mul_lo_u16_e32 v44, 50, v175
	v_sub_u16_e32 v176, v187, v44
	v_lshlrev_b32_e32 v56, 5, v176
	global_load_dwordx4 v[52:55], v56, s[8:9] offset:640
	global_load_dwordx4 v[48:51], v58, s[8:9] offset:656
	global_load_dwordx4 v[44:47], v56, s[8:9] offset:656
	v_lshrrev_b16_e32 v166, 1, v190
	v_mul_u32_u24_e32 v56, 0x147b, v166
	v_lshrrev_b32_e32 v177, 17, v56
	v_mul_lo_u16_e32 v56, 50, v177
	v_lshrrev_b16_e32 v167, 1, v182
	v_sub_u16_e32 v210, v190, v56
	v_mul_u32_u24_e32 v60, 0x147b, v167
	v_lshlrev_b32_e32 v64, 5, v210
	v_lshrrev_b32_e32 v211, 17, v60
	global_load_dwordx4 v[56:59], v64, s[8:9] offset:640
	v_mul_lo_u16_e32 v60, 50, v211
	v_sub_u16_e32 v212, v182, v60
	v_lshlrev_b32_e32 v68, 5, v212
	v_lshrrev_b16_e32 v168, 1, v186
	global_load_dwordx4 v[60:63], v68, s[8:9] offset:640
	s_nop 0
	global_load_dwordx4 v[64:67], v64, s[8:9] offset:656
	s_nop 0
	global_load_dwordx4 v[68:71], v68, s[8:9] offset:656
	v_mul_u32_u24_e32 v72, 0x147b, v168
	v_lshrrev_b32_e32 v213, 17, v72
	v_mul_lo_u16_e32 v72, 50, v213
	v_lshrrev_b16_e32 v169, 1, v188
	v_sub_u16_e32 v214, v186, v72
	v_mul_u32_u24_e32 v76, 0x147b, v169
	v_lshlrev_b32_e32 v80, 5, v214
	v_lshrrev_b32_e32 v215, 17, v76
	global_load_dwordx4 v[72:75], v80, s[8:9] offset:640
	v_mul_lo_u16_e32 v76, 50, v215
	v_sub_u16_e32 v216, v188, v76
	v_lshlrev_b32_e32 v84, 5, v216
	global_load_dwordx4 v[76:79], v84, s[8:9] offset:640
	s_nop 0
	global_load_dwordx4 v[80:83], v80, s[8:9] offset:656
	s_nop 0
	global_load_dwordx4 v[84:87], v84, s[8:9] offset:656
	v_add_u32_e32 v174, 0x3b1, v178
	v_lshrrev_b16_e32 v172, 1, v191
	v_lshrrev_b16_e32 v171, 1, v174
	v_mul_u32_u24_e32 v88, 0x147b, v172
	v_mul_u32_u24_e32 v92, 0x147b, v171
	v_lshrrev_b32_e32 v217, 17, v88
	v_lshrrev_b32_e32 v219, 17, v92
	v_mul_lo_u16_e32 v88, 50, v217
	v_mul_lo_u16_e32 v92, 50, v219
	v_sub_u16_e32 v218, v191, v88
	v_sub_u16_e32 v234, v174, v92
	v_lshlrev_b32_e32 v96, 5, v218
	v_lshlrev_b32_e32 v100, 5, v234
	global_load_dwordx4 v[88:91], v96, s[8:9] offset:640
	global_load_dwordx4 v[92:95], v100, s[8:9] offset:640
	ds_read2_b64 v[104:107], v194 offset0:70 offset1:205
	global_load_dwordx4 v[96:99], v96, s[8:9] offset:656
	s_nop 0
	global_load_dwordx4 v[100:103], v100, s[8:9] offset:656
	v_lshrrev_b16_e32 v170, 1, v207
	v_mul_u32_u24_e32 v124, 0x147b, v170
	v_lshrrev_b16_e32 v173, 1, v208
	v_lshrrev_b32_e32 v235, 17, v124
	v_mul_u32_u24_e32 v125, 0x147b, v173
	v_mul_lo_u16_e32 v124, 50, v235
	v_lshrrev_b32_e32 v237, 17, v125
	v_sub_u16_e32 v236, v207, v124
	v_mul_lo_u16_e32 v125, 50, v237
	v_lshlrev_b32_e32 v124, 5, v236
	v_sub_u16_e32 v238, v208, v125
	global_load_dwordx4 v[160:163], v124, s[8:9] offset:640
	global_load_dwordx4 v[224:227], v124, s[8:9] offset:656
	v_lshlrev_b32_e32 v125, 5, v238
	global_load_dwordx4 v[220:223], v125, s[8:9] offset:640
	global_load_dwordx4 v[228:231], v125, s[8:9] offset:656
	ds_read2_b64 v[130:133], v195 offset0:12 offset1:147
	s_mov_b32 s4, 0xe8584caa
	s_mov_b32 s5, 0xbfebb67a
	;; [unrolled: 1-line block ×4, first 2 shown]
	s_movk_i32 s12, 0x4b0
	s_movk_i32 s14, 0x1000
	s_mov_b32 s16, 0x91a3
	s_movk_i32 s15, 0x1c2
	s_waitcnt vmcnt(19) lgkmcnt(1)
	v_mul_f64 v[156:157], v[104:105], v[42:43]
	v_fmac_f64_e32 v[156:157], v[36:37], v[40:41]
	v_mul_f64 v[36:37], v[36:37], v[42:43]
	v_fma_f64 v[36:37], v[104:105], v[40:41], -v[36:37]
	s_waitcnt vmcnt(18)
	v_mul_f64 v[40:41], v[106:107], v[54:55]
	v_fmac_f64_e32 v[40:41], v[38:39], v[52:53]
	v_mul_f64 v[38:39], v[38:39], v[54:55]
	v_fma_f64 v[104:105], v[106:107], v[52:53], -v[38:39]
	s_waitcnt vmcnt(17) lgkmcnt(0)
	v_mul_f64 v[38:39], v[130:131], v[50:51]
	v_fmac_f64_e32 v[38:39], v[32:33], v[48:49]
	v_mul_f64 v[32:33], v[32:33], v[50:51]
	ds_read2_b64 v[52:55], v196 offset0:84 offset1:219
	v_fma_f64 v[232:233], v[130:131], v[48:49], -v[32:33]
	s_waitcnt vmcnt(16)
	v_mul_f64 v[106:107], v[132:133], v[46:47]
	v_mul_f64 v[32:33], v[34:35], v[46:47]
	v_fmac_f64_e32 v[106:107], v[34:35], v[44:45]
	v_fma_f64 v[140:141], v[132:133], v[44:45], -v[32:33]
	ds_read2_b64 v[32:35], v197 offset0:26 offset1:161
	s_waitcnt vmcnt(15) lgkmcnt(1)
	v_mul_f64 v[50:51], v[52:53], v[58:59]
	v_fmac_f64_e32 v[50:51], v[28:29], v[56:57]
	v_mul_f64 v[28:29], v[28:29], v[58:59]
	v_fma_f64 v[124:125], v[52:53], v[56:57], -v[28:29]
	s_waitcnt vmcnt(14)
	v_mul_f64 v[44:45], v[54:55], v[62:63]
	v_mul_f64 v[28:29], v[30:31], v[62:63]
	s_waitcnt vmcnt(13) lgkmcnt(0)
	v_mul_f64 v[132:133], v[32:33], v[66:67]
	v_fmac_f64_e32 v[44:45], v[30:31], v[60:61]
	v_fma_f64 v[56:57], v[54:55], v[60:61], -v[28:29]
	v_fmac_f64_e32 v[132:133], v[24:25], v[64:65]
	v_mul_f64 v[24:25], v[24:25], v[66:67]
	ds_read2_b64 v[28:31], v198 offset0:98 offset1:233
	v_fma_f64 v[148:149], v[32:33], v[64:65], -v[24:25]
	s_waitcnt vmcnt(12)
	v_mul_f64 v[130:131], v[34:35], v[70:71]
	v_mul_f64 v[24:25], v[26:27], v[70:71]
	v_fmac_f64_e32 v[130:131], v[26:27], v[68:69]
	v_fma_f64 v[142:143], v[34:35], v[68:69], -v[24:25]
	ds_read2_b64 v[24:27], v199 offset0:40 offset1:175
	s_waitcnt vmcnt(11) lgkmcnt(1)
	v_mul_f64 v[52:53], v[28:29], v[74:75]
	v_fmac_f64_e32 v[52:53], v[20:21], v[72:73]
	v_mul_f64 v[20:21], v[20:21], v[74:75]
	v_fma_f64 v[68:69], v[28:29], v[72:73], -v[20:21]
	s_waitcnt vmcnt(10)
	v_mul_f64 v[46:47], v[30:31], v[78:79]
	v_mul_f64 v[20:21], v[22:23], v[78:79]
	s_waitcnt vmcnt(9) lgkmcnt(0)
	v_mul_f64 v[78:79], v[24:25], v[82:83]
	v_fmac_f64_e32 v[78:79], v[16:17], v[80:81]
	v_mul_f64 v[16:17], v[16:17], v[82:83]
	v_fma_f64 v[150:151], v[24:25], v[80:81], -v[16:17]
	s_waitcnt vmcnt(8)
	v_mul_f64 v[70:71], v[26:27], v[86:87]
	v_mul_f64 v[16:17], v[18:19], v[86:87]
	v_fmac_f64_e32 v[70:71], v[18:19], v[84:85]
	v_fma_f64 v[144:145], v[26:27], v[84:85], -v[16:17]
	ds_read2_b64 v[16:19], v201 offset0:54 offset1:189
	v_fmac_f64_e32 v[46:47], v[22:23], v[76:77]
	v_fma_f64 v[58:59], v[30:31], v[76:77], -v[20:21]
	ds_read2_b64 v[20:23], v200 offset0:112 offset1:247
	s_waitcnt vmcnt(5) lgkmcnt(1)
	v_mul_f64 v[134:135], v[16:17], v[98:99]
	v_fmac_f64_e32 v[134:135], v[8:9], v[96:97]
	v_mul_f64 v[8:9], v[8:9], v[98:99]
	s_waitcnt lgkmcnt(0)
	v_mul_f64 v[54:55], v[20:21], v[90:91]
	v_fma_f64 v[152:153], v[16:17], v[96:97], -v[8:9]
	s_waitcnt vmcnt(4)
	v_mul_f64 v[74:75], v[18:19], v[102:103]
	v_mul_f64 v[8:9], v[10:11], v[102:103]
	v_fmac_f64_e32 v[54:55], v[12:13], v[88:89]
	v_mul_f64 v[12:13], v[12:13], v[90:91]
	v_fmac_f64_e32 v[74:75], v[10:11], v[100:101]
	v_fma_f64 v[98:99], v[18:19], v[100:101], -v[8:9]
	ds_read2_b64 v[8:11], v206 offset0:68 offset1:203
	v_fma_f64 v[72:73], v[20:21], v[88:89], -v[12:13]
	v_mul_f64 v[48:49], v[22:23], v[94:95]
	v_mul_f64 v[12:13], v[14:15], v[94:95]
	v_fmac_f64_e32 v[48:49], v[14:15], v[92:93]
	v_fma_f64 v[60:61], v[22:23], v[92:93], -v[12:13]
	ds_read2_b64 v[12:15], v205 offset0:62 offset1:197
	s_waitcnt vmcnt(2) lgkmcnt(1)
	v_mul_f64 v[100:101], v[8:9], v[226:227]
	v_fmac_f64_e32 v[100:101], v[0:1], v[224:225]
	v_mul_f64 v[0:1], v[0:1], v[226:227]
	s_waitcnt vmcnt(0)
	v_mul_f64 v[64:65], v[10:11], v[230:231]
	s_waitcnt lgkmcnt(0)
	v_mul_f64 v[62:63], v[12:13], v[162:163]
	v_fma_f64 v[154:155], v[8:9], v[224:225], -v[0:1]
	v_fmac_f64_e32 v[64:65], v[2:3], v[228:229]
	v_mul_f64 v[0:1], v[2:3], v[230:231]
	v_add_f64 v[2:3], v[156:157], v[38:39]
	v_fmac_f64_e32 v[62:63], v[4:5], v[160:161]
	v_mul_f64 v[4:5], v[4:5], v[162:163]
	v_fma_f64 v[146:147], v[10:11], v[228:229], -v[0:1]
	v_add_f64 v[0:1], v[128:129], v[156:157]
	v_fmac_f64_e32 v[128:129], -0.5, v[2:3]
	v_lshlrev_b32_sdwa v2, v209, v159 dst_sel:DWORD dst_unused:UNUSED_PAD src0_sel:DWORD src1_sel:BYTE_0
	v_mul_u32_u24_e32 v3, 0x4b0, v158
	v_fma_f64 v[76:77], v[12:13], v[160:161], -v[4:5]
	v_mul_f64 v[4:5], v[6:7], v[222:223]
	v_add3_u32 v209, 0, v3, v2
	v_add_f64 v[2:3], v[36:37], -v[232:233]
	v_mul_f64 v[42:43], v[14:15], v[222:223]
	v_fma_f64 v[66:67], v[14:15], v[220:221], -v[4:5]
	v_add_f64 v[0:1], v[0:1], v[38:39]
	v_fma_f64 v[4:5], s[4:5], v[2:3], v[128:129]
	v_fmac_f64_e32 v[128:129], s[10:11], v[2:3]
	v_add_f64 v[2:3], v[40:41], v[106:107]
	v_fmac_f64_e32 v[42:43], v[6:7], v[220:221]
	ds_read_b64 v[220:221], v181
	ds_read_b64 v[222:223], v192
	;; [unrolled: 1-line block ×7, first 2 shown]
	ds_read_b64 v[162:163], v202 offset:7560
	ds_read_b64 v[160:161], v203
	ds_read_b64 v[158:159], v204
	s_waitcnt lgkmcnt(0)
	s_barrier
	ds_write2_b64 v209, v[0:1], v[4:5] offset1:50
	v_add_f64 v[0:1], v[126:127], v[40:41]
	v_fmac_f64_e32 v[126:127], -0.5, v[2:3]
	v_mul_u32_u24_e32 v2, 0x4b0, v175
	v_lshlrev_b32_e32 v3, 3, v176
	ds_write_b64 v209, v[128:129] offset:800
	v_add3_u32 v128, 0, v2, v3
	v_add_f64 v[2:3], v[104:105], -v[140:141]
	v_add_f64 v[0:1], v[0:1], v[106:107]
	v_fma_f64 v[4:5], s[4:5], v[2:3], v[126:127]
	v_fmac_f64_e32 v[126:127], s[10:11], v[2:3]
	v_add_f64 v[2:3], v[50:51], v[132:133]
	ds_write2_b64 v128, v[0:1], v[4:5] offset1:50
	v_add_f64 v[0:1], v[122:123], v[50:51]
	v_fmac_f64_e32 v[122:123], -0.5, v[2:3]
	v_mul_u32_u24_e32 v2, 0x4b0, v177
	v_lshlrev_b32_e32 v3, 3, v210
	ds_write_b64 v128, v[126:127] offset:800
	v_add3_u32 v126, 0, v2, v3
	v_add_f64 v[2:3], v[124:125], -v[148:149]
	v_add_f64 v[0:1], v[0:1], v[132:133]
	v_fma_f64 v[4:5], s[4:5], v[2:3], v[122:123]
	v_fmac_f64_e32 v[122:123], s[10:11], v[2:3]
	v_add_f64 v[2:3], v[44:45], v[130:131]
	;; [unrolled: 12-line block ×7, first 2 shown]
	ds_write2_b64 v114, v[0:1], v[4:5] offset1:50
	v_add_f64 v[0:1], v[110:111], v[62:63]
	v_fmac_f64_e32 v[110:111], -0.5, v[2:3]
	v_perm_b32 v2, v237, v235, s18
	v_pk_mul_lo_u16 v6, v2, s12 op_sel_hi:[1,0]
	v_lshlrev_b32_e32 v2, 3, v236
	v_and_b32_e32 v3, 0xfff0, v6
	v_add3_u32 v115, 0, v3, v2
	v_add_f64 v[2:3], v[76:77], -v[154:155]
	v_add_f64 v[0:1], v[0:1], v[100:101]
	v_fma_f64 v[4:5], s[4:5], v[2:3], v[110:111]
	v_fmac_f64_e32 v[110:111], s[10:11], v[2:3]
	v_add_f64 v[2:3], v[42:43], v[64:65]
	ds_write_b64 v114, v[112:113] offset:800
	ds_write2_b64 v115, v[0:1], v[4:5] offset1:50
	v_add_f64 v[0:1], v[108:109], v[42:43]
	v_fmac_f64_e32 v[108:109], -0.5, v[2:3]
	v_lshrrev_b32_e32 v2, 16, v6
	v_lshlrev_b32_e32 v3, 3, v238
	v_add3_u32 v117, 0, v2, v3
	v_add_f64 v[2:3], v[66:67], -v[146:147]
	v_add_f64 v[0:1], v[0:1], v[64:65]
	v_fma_f64 v[4:5], s[4:5], v[2:3], v[108:109]
	ds_write_b64 v115, v[110:111] offset:800
	ds_write2_b64 v117, v[0:1], v[4:5] offset1:50
	v_add_f64 v[0:1], v[220:221], v[36:37]
	v_add_f64 v[110:111], v[0:1], v[232:233]
	;; [unrolled: 1-line block ×3, first 2 shown]
	v_fmac_f64_e32 v[220:221], -0.5, v[0:1]
	v_add_f64 v[112:113], v[156:157], -v[38:39]
	v_fmac_f64_e32 v[108:109], s[10:11], v[2:3]
	ds_write_b64 v117, v[108:109] offset:800
	v_fma_f64 v[108:109], s[10:11], v[112:113], v[220:221]
	s_waitcnt lgkmcnt(0)
	s_barrier
	ds_read_b64 v[102:103], v181
	ds_read_b64 v[96:97], v192
	;; [unrolled: 1-line block ×7, first 2 shown]
	ds_read_b64 v[84:85], v202 offset:7560
	ds_read_b64 v[82:83], v203
	ds_read_b64 v[80:81], v204
	ds_read2_b64 v[36:39], v194 offset0:70 offset1:205
	ds_read2_b64 v[32:35], v195 offset0:12 offset1:147
	;; [unrolled: 1-line block ×10, first 2 shown]
	s_waitcnt lgkmcnt(0)
	s_barrier
	ds_write2_b64 v209, v[110:111], v[108:109] offset1:50
	v_add_f64 v[108:109], v[222:223], v[104:105]
	v_add_f64 v[104:105], v[104:105], v[140:141]
	v_fmac_f64_e32 v[222:223], -0.5, v[104:105]
	v_add_f64 v[40:41], v[40:41], -v[106:107]
	v_fmac_f64_e32 v[220:221], s[4:5], v[112:113]
	v_add_f64 v[108:109], v[108:109], v[140:141]
	v_fma_f64 v[104:105], s[10:11], v[40:41], v[222:223]
	ds_write_b64 v209, v[220:221] offset:800
	ds_write2_b64 v128, v[108:109], v[104:105] offset1:50
	v_add_f64 v[104:105], v[124:125], v[148:149]
	v_fmac_f64_e32 v[222:223], s[4:5], v[40:41]
	v_add_f64 v[40:41], v[224:225], v[124:125]
	v_fmac_f64_e32 v[224:225], -0.5, v[104:105]
	v_add_f64 v[50:51], v[50:51], -v[132:133]
	v_add_f64 v[40:41], v[40:41], v[148:149]
	v_fma_f64 v[104:105], s[10:11], v[50:51], v[224:225]
	v_fmac_f64_e32 v[224:225], s[4:5], v[50:51]
	v_add_f64 v[50:51], v[56:57], v[142:143]
	ds_write_b64 v128, v[222:223] offset:800
	ds_write2_b64 v126, v[40:41], v[104:105] offset1:50
	v_add_f64 v[40:41], v[228:229], v[56:57]
	v_fmac_f64_e32 v[228:229], -0.5, v[50:51]
	v_add_f64 v[44:45], v[44:45], -v[130:131]
	v_add_f64 v[40:41], v[40:41], v[142:143]
	v_fma_f64 v[50:51], s[10:11], v[44:45], v[228:229]
	v_fmac_f64_e32 v[228:229], s[4:5], v[44:45]
	v_add_f64 v[44:45], v[68:69], v[150:151]
	ds_write_b64 v126, v[224:225] offset:800
	ds_write2_b64 v122, v[40:41], v[50:51] offset1:50
	;; [unrolled: 9-line block ×6, first 2 shown]
	v_add_f64 v[40:41], v[160:161], v[76:77]
	v_fmac_f64_e32 v[160:161], -0.5, v[44:45]
	v_add_f64 v[44:45], v[62:63], -v[100:101]
	v_add_f64 v[48:49], v[66:67], v[146:147]
	v_lshlrev_b32_e32 v98, 1, v178
	v_mov_b32_e32 v99, 0
	v_add_f64 v[40:41], v[40:41], v[154:155]
	v_fma_f64 v[46:47], s[10:11], v[44:45], v[160:161]
	v_fmac_f64_e32 v[160:161], s[4:5], v[44:45]
	v_add_f64 v[44:45], v[158:159], v[66:67]
	v_fmac_f64_e32 v[158:159], -0.5, v[48:49]
	v_lshl_add_u64 v[100:101], v[98:99], 4, s[8:9]
	v_add_f64 v[42:43], v[42:43], -v[64:65]
	v_add_f64 v[44:45], v[44:45], v[146:147]
	v_add_u32_e32 v50, -15, v178
	v_fma_f64 v[48:49], s[10:11], v[42:43], v[158:159]
	v_fmac_f64_e32 v[158:159], s[4:5], v[42:43]
	ds_write_b64 v114, v[162:163] offset:800
	ds_write2_b64 v115, v[40:41], v[46:47] offset1:50
	ds_write_b64 v115, v[160:161] offset:800
	ds_write2_b64 v117, v[44:45], v[48:49] offset1:50
	ds_write_b64 v117, v[158:159] offset:800
	s_waitcnt lgkmcnt(0)
	s_barrier
	global_load_dwordx4 v[40:43], v[100:101], off offset:2240
	v_cndmask_b32_e32 v108, v50, v187, vcc
	v_lshlrev_b32_e32 v44, 1, v108
	v_mov_b32_e32 v45, v99
	v_lshl_add_u64 v[56:57], v[44:45], 4, s[8:9]
	global_load_dwordx4 v[44:47], v[56:57], off offset:2240
	global_load_dwordx4 v[48:51], v[100:101], off offset:2256
	;; [unrolled: 1-line block ×3, first 2 shown]
	v_mul_u32_u24_e32 v56, 0xda75, v166
	v_lshrrev_b32_e32 v109, 22, v56
	v_mul_lo_u16_e32 v56, 0x96, v109
	v_sub_u16_e32 v110, v190, v56
	v_mul_u32_u24_e32 v60, 0xda75, v167
	v_lshlrev_b32_e32 v64, 5, v110
	v_lshrrev_b32_e32 v112, 22, v60
	global_load_dwordx4 v[56:59], v64, s[8:9] offset:2240
	v_mul_lo_u16_e32 v60, 0x96, v112
	v_sub_u16_e32 v111, v182, v60
	v_lshlrev_b32_e32 v68, 5, v111
	global_load_dwordx4 v[60:63], v68, s[8:9] offset:2240
	s_nop 0
	global_load_dwordx4 v[64:67], v64, s[8:9] offset:2256
	s_nop 0
	global_load_dwordx4 v[68:71], v68, s[8:9] offset:2256
	v_mul_u32_u24_e32 v72, 0xda75, v168
	v_lshrrev_b32_e32 v114, 22, v72
	v_mul_lo_u16_e32 v72, 0x96, v114
	v_sub_u16_e32 v113, v186, v72
	v_mul_u32_u24_e32 v76, 0xda75, v169
	v_lshlrev_b32_e32 v104, 5, v113
	v_lshrrev_b32_e32 v116, 22, v76
	global_load_dwordx4 v[72:75], v104, s[8:9] offset:2240
	v_mul_lo_u16_e32 v76, 0x96, v116
	v_sub_u16_e32 v115, v188, v76
	v_lshlrev_b32_e32 v105, 5, v115
	global_load_dwordx4 v[76:79], v105, s[8:9] offset:2240
	global_load_dwordx4 v[126:129], v104, s[8:9] offset:2256
	;; [unrolled: 1-line block ×3, first 2 shown]
	v_mul_u32_u24_e32 v104, 0xda75, v172
	v_mul_u32_u24_e32 v105, 0xda75, v171
	v_lshrrev_b32_e32 v118, 22, v104
	v_lshrrev_b32_e32 v119, 22, v105
	v_mul_lo_u16_e32 v104, 0x96, v118
	v_mul_lo_u16_e32 v105, 0x96, v119
	v_sub_u16_e32 v117, v191, v104
	v_sub_u16_e32 v175, v174, v105
	v_lshlrev_b32_e32 v104, 5, v117
	v_lshlrev_b32_e32 v105, 5, v175
	global_load_dwordx4 v[148:151], v104, s[8:9] offset:2240
	global_load_dwordx4 v[152:155], v105, s[8:9] offset:2240
	;; [unrolled: 1-line block ×4, first 2 shown]
	v_mul_u32_u24_e32 v104, 0xda75, v170
	v_lshrrev_b32_e32 v176, 22, v104
	v_mul_u32_u24_e32 v105, 0xda75, v173
	v_mul_lo_u16_e32 v104, 0x96, v176
	v_lshrrev_b32_e32 v105, 22, v105
	v_sub_u16_e32 v177, v207, v104
	v_mul_lo_u16_e32 v105, 0x96, v105
	v_lshlrev_b32_e32 v104, 5, v177
	v_sub_u16_e32 v209, v208, v105
	global_load_dwordx4 v[164:167], v104, s[8:9] offset:2240
	global_load_dwordx4 v[210:213], v104, s[8:9] offset:2256
	v_lshlrev_b32_e32 v105, 5, v209
	global_load_dwordx4 v[168:171], v105, s[8:9] offset:2240
	global_load_dwordx4 v[214:217], v105, s[8:9] offset:2256
	ds_read2_b64 v[120:123], v194 offset0:70 offset1:205
	ds_read2_b64 v[130:133], v195 offset0:12 offset1:147
	v_cmp_lt_u32_e32 vcc, 14, v178
	s_movk_i32 s12, 0xe10
	s_waitcnt vmcnt(19) lgkmcnt(1)
	v_mul_f64 v[106:107], v[120:121], v[42:43]
	v_fmac_f64_e32 v[106:107], v[36:37], v[40:41]
	v_mul_f64 v[36:37], v[36:37], v[42:43]
	v_fma_f64 v[36:37], v[120:121], v[40:41], -v[36:37]
	s_waitcnt vmcnt(18)
	v_mul_f64 v[40:41], v[122:123], v[46:47]
	v_fmac_f64_e32 v[40:41], v[38:39], v[44:45]
	v_mul_f64 v[38:39], v[38:39], v[46:47]
	v_fma_f64 v[104:105], v[122:123], v[44:45], -v[38:39]
	ds_read2_b64 v[42:45], v196 offset0:84 offset1:219
	s_waitcnt vmcnt(16) lgkmcnt(1)
	v_mul_f64 v[122:123], v[132:133], v[54:55]
	v_mul_f64 v[38:39], v[130:131], v[50:51]
	v_fmac_f64_e32 v[122:123], v[34:35], v[52:53]
	v_mul_f64 v[34:35], v[34:35], v[54:55]
	v_fmac_f64_e32 v[38:39], v[32:33], v[48:49]
	v_mul_f64 v[32:33], v[32:33], v[50:51]
	v_fma_f64 v[134:135], v[132:133], v[52:53], -v[34:35]
	ds_read2_b64 v[50:53], v197 offset0:26 offset1:161
	v_fma_f64 v[32:33], v[130:131], v[48:49], -v[32:33]
	s_waitcnt vmcnt(15) lgkmcnt(1)
	v_mul_f64 v[48:49], v[42:43], v[58:59]
	v_fmac_f64_e32 v[48:49], v[28:29], v[56:57]
	v_mul_f64 v[28:29], v[28:29], v[58:59]
	v_fma_f64 v[120:121], v[42:43], v[56:57], -v[28:29]
	s_waitcnt vmcnt(14)
	v_mul_f64 v[42:43], v[44:45], v[62:63]
	v_mul_f64 v[28:29], v[30:31], v[62:63]
	s_waitcnt vmcnt(13) lgkmcnt(0)
	v_mul_f64 v[124:125], v[50:51], v[66:67]
	v_fmac_f64_e32 v[42:43], v[30:31], v[60:61]
	v_fma_f64 v[54:55], v[44:45], v[60:61], -v[28:29]
	v_fmac_f64_e32 v[124:125], v[24:25], v[64:65]
	v_mul_f64 v[24:25], v[24:25], v[66:67]
	ds_read2_b64 v[28:31], v198 offset0:98 offset1:233
	v_fma_f64 v[144:145], v[50:51], v[64:65], -v[24:25]
	s_waitcnt vmcnt(12)
	v_mul_f64 v[64:65], v[52:53], v[70:71]
	v_mul_f64 v[24:25], v[26:27], v[70:71]
	v_fmac_f64_e32 v[64:65], v[26:27], v[68:69]
	v_fma_f64 v[130:131], v[52:53], v[68:69], -v[24:25]
	ds_read2_b64 v[24:27], v199 offset0:40 offset1:175
	s_waitcnt vmcnt(11) lgkmcnt(1)
	v_mul_f64 v[50:51], v[28:29], v[74:75]
	v_fmac_f64_e32 v[50:51], v[20:21], v[72:73]
	v_mul_f64 v[20:21], v[20:21], v[74:75]
	v_fma_f64 v[66:67], v[28:29], v[72:73], -v[20:21]
	s_waitcnt vmcnt(10)
	v_mul_f64 v[44:45], v[30:31], v[78:79]
	v_mul_f64 v[20:21], v[22:23], v[78:79]
	s_waitcnt vmcnt(9) lgkmcnt(0)
	v_mul_f64 v[78:79], v[24:25], v[128:129]
	v_fmac_f64_e32 v[78:79], v[16:17], v[126:127]
	v_mul_f64 v[16:17], v[16:17], v[128:129]
	v_fma_f64 v[146:147], v[24:25], v[126:127], -v[16:17]
	s_waitcnt vmcnt(8)
	v_mul_f64 v[68:69], v[26:27], v[142:143]
	v_mul_f64 v[16:17], v[18:19], v[142:143]
	v_fmac_f64_e32 v[44:45], v[22:23], v[76:77]
	v_fma_f64 v[56:57], v[30:31], v[76:77], -v[20:21]
	ds_read2_b64 v[20:23], v200 offset0:112 offset1:247
	v_fmac_f64_e32 v[68:69], v[18:19], v[140:141]
	v_fma_f64 v[132:133], v[26:27], v[140:141], -v[16:17]
	ds_read2_b64 v[16:19], v201 offset0:54 offset1:189
	s_waitcnt vmcnt(7) lgkmcnt(1)
	v_mul_f64 v[52:53], v[20:21], v[150:151]
	v_fmac_f64_e32 v[52:53], v[12:13], v[148:149]
	v_mul_f64 v[12:13], v[12:13], v[150:151]
	s_waitcnt vmcnt(5) lgkmcnt(0)
	v_mul_f64 v[126:127], v[16:17], v[158:159]
	v_fmac_f64_e32 v[126:127], v[8:9], v[156:157]
	v_mul_f64 v[8:9], v[8:9], v[158:159]
	v_fma_f64 v[70:71], v[20:21], v[148:149], -v[12:13]
	v_fma_f64 v[148:149], v[16:17], v[156:157], -v[8:9]
	s_waitcnt vmcnt(4)
	v_mul_f64 v[72:73], v[18:19], v[162:163]
	v_mul_f64 v[8:9], v[10:11], v[162:163]
	;; [unrolled: 1-line block ×4, first 2 shown]
	v_fmac_f64_e32 v[72:73], v[10:11], v[160:161]
	v_fma_f64 v[140:141], v[18:19], v[160:161], -v[8:9]
	ds_read2_b64 v[8:11], v206 offset0:68 offset1:203
	v_fmac_f64_e32 v[46:47], v[14:15], v[152:153]
	v_fma_f64 v[60:61], v[22:23], v[152:153], -v[12:13]
	ds_read2_b64 v[12:15], v205 offset0:62 offset1:197
	s_waitcnt vmcnt(2) lgkmcnt(1)
	v_mul_f64 v[142:143], v[8:9], v[212:213]
	v_fmac_f64_e32 v[142:143], v[0:1], v[210:211]
	v_mul_f64 v[0:1], v[0:1], v[212:213]
	s_waitcnt lgkmcnt(0)
	v_mul_f64 v[62:63], v[12:13], v[166:167]
	s_waitcnt vmcnt(0)
	v_mul_f64 v[128:129], v[10:11], v[216:217]
	v_fmac_f64_e32 v[62:63], v[4:5], v[164:165]
	v_mul_f64 v[4:5], v[4:5], v[166:167]
	v_fma_f64 v[152:153], v[8:9], v[210:211], -v[0:1]
	v_fmac_f64_e32 v[128:129], v[2:3], v[214:215]
	v_mul_f64 v[0:1], v[2:3], v[216:217]
	v_add_f64 v[2:3], v[106:107], v[38:39]
	v_fma_f64 v[76:77], v[12:13], v[164:165], -v[4:5]
	v_mul_f64 v[4:5], v[6:7], v[170:171]
	v_fma_f64 v[150:151], v[10:11], v[214:215], -v[0:1]
	v_add_f64 v[0:1], v[102:103], v[106:107]
	v_fmac_f64_e32 v[102:103], -0.5, v[2:3]
	v_add_f64 v[2:3], v[36:37], -v[32:33]
	v_mul_f64 v[58:59], v[14:15], v[170:171]
	v_fma_f64 v[74:75], v[14:15], v[168:169], -v[4:5]
	v_add_f64 v[0:1], v[0:1], v[38:39]
	v_fma_f64 v[4:5], s[4:5], v[2:3], v[102:103]
	v_fmac_f64_e32 v[102:103], s[10:11], v[2:3]
	v_add_f64 v[2:3], v[40:41], v[122:123]
	v_fmac_f64_e32 v[58:59], v[6:7], v[168:169]
	ds_read_b64 v[172:173], v181
	ds_read_b64 v[170:171], v192
	;; [unrolled: 1-line block ×7, first 2 shown]
	ds_read_b64 v[160:161], v202 offset:7560
	ds_read_b64 v[156:157], v203
	ds_read_b64 v[154:155], v204
	s_waitcnt lgkmcnt(0)
	s_barrier
	ds_write2_b64 v181, v[0:1], v[4:5] offset1:150
	v_add_f64 v[0:1], v[96:97], v[40:41]
	v_fmac_f64_e32 v[96:97], -0.5, v[2:3]
	v_mov_b32_e32 v2, 0xe10
	v_cndmask_b32_e32 v2, 0, v2, vcc
	v_lshlrev_b32_e32 v3, 3, v108
	ds_write_b64 v181, v[102:103] offset:2400
	v_add3_u32 v102, 0, v2, v3
	v_add_f64 v[2:3], v[104:105], -v[134:135]
	v_add_f64 v[0:1], v[0:1], v[122:123]
	v_fma_f64 v[4:5], s[4:5], v[2:3], v[96:97]
	v_fmac_f64_e32 v[96:97], s[10:11], v[2:3]
	v_add_f64 v[2:3], v[48:49], v[124:125]
	ds_write2_b64 v102, v[0:1], v[4:5] offset1:150
	v_add_f64 v[0:1], v[94:95], v[48:49]
	v_fmac_f64_e32 v[94:95], -0.5, v[2:3]
	v_mul_u32_u24_e32 v2, 0xe10, v109
	v_lshlrev_b32_e32 v3, 3, v110
	v_add3_u32 v103, 0, v2, v3
	v_add_f64 v[2:3], v[120:121], -v[144:145]
	v_add_f64 v[0:1], v[0:1], v[124:125]
	v_fma_f64 v[4:5], s[4:5], v[2:3], v[94:95]
	v_fmac_f64_e32 v[94:95], s[10:11], v[2:3]
	v_add_f64 v[2:3], v[42:43], v[64:65]
	ds_write_b64 v102, v[96:97] offset:2400
	ds_write2_b64 v103, v[0:1], v[4:5] offset1:150
	v_add_f64 v[0:1], v[92:93], v[42:43]
	v_fmac_f64_e32 v[92:93], -0.5, v[2:3]
	v_perm_b32 v2, v114, v112, s18
	v_pk_mul_lo_u16 v6, v2, s12 op_sel_hi:[1,0]
	v_lshlrev_b32_e32 v2, 3, v111
	v_and_b32_e32 v3, 0xfff0, v6
	v_add3_u32 v210, 0, v3, v2
	v_add_f64 v[2:3], v[54:55], -v[130:131]
	v_add_f64 v[0:1], v[0:1], v[64:65]
	v_fma_f64 v[4:5], s[4:5], v[2:3], v[92:93]
	v_fmac_f64_e32 v[92:93], s[10:11], v[2:3]
	v_add_f64 v[2:3], v[50:51], v[78:79]
	ds_write_b64 v103, v[94:95] offset:2400
	ds_write2_b64 v210, v[0:1], v[4:5] offset1:150
	v_add_f64 v[0:1], v[90:91], v[50:51]
	v_fmac_f64_e32 v[90:91], -0.5, v[2:3]
	v_lshrrev_b32_e32 v2, 16, v6
	v_lshlrev_b32_e32 v3, 3, v113
	v_add3_u32 v211, 0, v2, v3
	v_add_f64 v[2:3], v[66:67], -v[146:147]
	v_add_f64 v[0:1], v[0:1], v[78:79]
	v_fma_f64 v[4:5], s[4:5], v[2:3], v[90:91]
	v_fmac_f64_e32 v[90:91], s[10:11], v[2:3]
	v_add_f64 v[2:3], v[44:45], v[68:69]
	ds_write_b64 v210, v[92:93] offset:2400
	ds_write2_b64 v211, v[0:1], v[4:5] offset1:150
	v_add_f64 v[0:1], v[88:89], v[44:45]
	v_fmac_f64_e32 v[88:89], -0.5, v[2:3]
	v_perm_b32 v2, v118, v116, s18
	v_pk_mul_lo_u16 v6, v2, s12 op_sel_hi:[1,0]
	v_lshlrev_b32_e32 v2, 3, v115
	v_and_b32_e32 v3, 0xfff0, v6
	ds_write_b64 v211, v[90:91] offset:2400
	v_add3_u32 v90, 0, v3, v2
	v_add_f64 v[2:3], v[56:57], -v[132:133]
	v_add_f64 v[0:1], v[0:1], v[68:69]
	v_fma_f64 v[4:5], s[4:5], v[2:3], v[88:89]
	v_fmac_f64_e32 v[88:89], s[10:11], v[2:3]
	v_add_f64 v[2:3], v[52:53], v[126:127]
	ds_write2_b64 v90, v[0:1], v[4:5] offset1:150
	v_add_f64 v[0:1], v[86:87], v[52:53]
	v_fmac_f64_e32 v[86:87], -0.5, v[2:3]
	v_lshrrev_b32_e32 v2, 16, v6
	v_lshlrev_b32_e32 v3, 3, v117
	ds_write_b64 v90, v[88:89] offset:2400
	v_add3_u32 v88, 0, v2, v3
	v_add_f64 v[2:3], v[70:71], -v[148:149]
	v_add_f64 v[0:1], v[0:1], v[126:127]
	v_fma_f64 v[4:5], s[4:5], v[2:3], v[86:87]
	v_fmac_f64_e32 v[86:87], s[10:11], v[2:3]
	v_add_f64 v[2:3], v[46:47], v[72:73]
	ds_write2_b64 v88, v[0:1], v[4:5] offset1:150
	v_add_f64 v[0:1], v[84:85], v[46:47]
	v_fmac_f64_e32 v[84:85], -0.5, v[2:3]
	v_perm_b32 v2, v176, v119, s18
	v_pk_mul_lo_u16 v6, v2, s12 op_sel_hi:[1,0]
	v_lshlrev_b32_e32 v2, 3, v175
	v_and_b32_e32 v3, 0xfff0, v6
	ds_write_b64 v88, v[86:87] offset:2400
	v_add3_u32 v86, 0, v3, v2
	v_add_f64 v[2:3], v[60:61], -v[140:141]
	v_add_f64 v[0:1], v[0:1], v[72:73]
	v_fma_f64 v[4:5], s[4:5], v[2:3], v[84:85]
	v_fmac_f64_e32 v[84:85], s[10:11], v[2:3]
	v_add_f64 v[2:3], v[62:63], v[142:143]
	ds_write2_b64 v86, v[0:1], v[4:5] offset1:150
	v_add_f64 v[0:1], v[82:83], v[62:63]
	v_fmac_f64_e32 v[82:83], -0.5, v[2:3]
	v_lshrrev_b32_e32 v2, 16, v6
	v_lshlrev_b32_e32 v3, 3, v177
	v_add3_u32 v87, 0, v2, v3
	v_add_f64 v[2:3], v[76:77], -v[152:153]
	v_add_f64 v[0:1], v[0:1], v[142:143]
	v_fma_f64 v[4:5], s[4:5], v[2:3], v[82:83]
	v_fmac_f64_e32 v[82:83], s[10:11], v[2:3]
	v_add_f64 v[2:3], v[58:59], v[128:129]
	ds_write_b64 v86, v[84:85] offset:2400
	ds_write2_b64 v87, v[0:1], v[4:5] offset1:150
	v_add_f64 v[0:1], v[80:81], v[58:59]
	v_fmac_f64_e32 v[80:81], -0.5, v[2:3]
	v_lshl_add_u32 v89, v209, 3, 0
	v_add_f64 v[2:3], v[74:75], -v[150:151]
	v_add_f64 v[0:1], v[0:1], v[128:129]
	v_add_u32_e32 v91, 0x7000, v89
	v_fma_f64 v[4:5], s[4:5], v[2:3], v[80:81]
	ds_write_b64 v87, v[82:83] offset:2400
	ds_write2_b64 v91, v[0:1], v[4:5] offset0:16 offset1:166
	v_add_f64 v[0:1], v[172:173], v[36:37]
	v_add_f64 v[82:83], v[0:1], v[32:33]
	;; [unrolled: 1-line block ×3, first 2 shown]
	v_fmac_f64_e32 v[172:173], -0.5, v[0:1]
	v_add_f64 v[84:85], v[106:107], -v[38:39]
	v_fmac_f64_e32 v[80:81], s[10:11], v[2:3]
	ds_write_b64 v89, v[80:81] offset:31200
	v_fma_f64 v[80:81], s[10:11], v[84:85], v[172:173]
	s_waitcnt lgkmcnt(0)
	s_barrier
	ds_read_b64 v[118:119], v181
	ds_read_b64 v[116:117], v192
	;; [unrolled: 1-line block ×7, first 2 shown]
	ds_read_b64 v[96:97], v202 offset:7560
	ds_read_b64 v[94:95], v203
	ds_read_b64 v[92:93], v204
	ds_read2_b64 v[36:39], v194 offset0:70 offset1:205
	ds_read2_b64 v[32:35], v195 offset0:12 offset1:147
	;; [unrolled: 1-line block ×10, first 2 shown]
	s_waitcnt lgkmcnt(0)
	s_barrier
	ds_write2_b64 v181, v[82:83], v[80:81] offset1:150
	v_add_f64 v[82:83], v[104:105], v[134:135]
	v_add_f64 v[80:81], v[170:171], v[104:105]
	v_fmac_f64_e32 v[170:171], -0.5, v[82:83]
	v_add_f64 v[40:41], v[40:41], -v[122:123]
	v_fmac_f64_e32 v[172:173], s[4:5], v[84:85]
	v_add_f64 v[80:81], v[80:81], v[134:135]
	v_fma_f64 v[82:83], s[10:11], v[40:41], v[170:171]
	ds_write_b64 v181, v[172:173] offset:2400
	ds_write2_b64 v102, v[80:81], v[82:83] offset1:150
	v_add_f64 v[80:81], v[120:121], v[144:145]
	v_fmac_f64_e32 v[170:171], s[4:5], v[40:41]
	v_add_f64 v[40:41], v[168:169], v[120:121]
	v_fmac_f64_e32 v[168:169], -0.5, v[80:81]
	v_add_f64 v[48:49], v[48:49], -v[124:125]
	v_add_f64 v[40:41], v[40:41], v[144:145]
	v_fma_f64 v[80:81], s[10:11], v[48:49], v[168:169]
	v_fmac_f64_e32 v[168:169], s[4:5], v[48:49]
	v_add_f64 v[48:49], v[54:55], v[130:131]
	ds_write_b64 v102, v[170:171] offset:2400
	ds_write2_b64 v103, v[40:41], v[80:81] offset1:150
	v_add_f64 v[40:41], v[166:167], v[54:55]
	v_fmac_f64_e32 v[166:167], -0.5, v[48:49]
	v_add_f64 v[42:43], v[42:43], -v[64:65]
	v_add_f64 v[40:41], v[40:41], v[130:131]
	v_fma_f64 v[48:49], s[10:11], v[42:43], v[166:167]
	v_fmac_f64_e32 v[166:167], s[4:5], v[42:43]
	v_add_f64 v[42:43], v[66:67], v[146:147]
	ds_write_b64 v103, v[168:169] offset:2400
	ds_write2_b64 v210, v[40:41], v[48:49] offset1:150
	;; [unrolled: 9-line block ×5, first 2 shown]
	v_add_f64 v[40:41], v[160:161], v[60:61]
	v_fmac_f64_e32 v[160:161], -0.5, v[42:43]
	v_add_f64 v[42:43], v[46:47], -v[72:73]
	v_add_f64 v[46:47], v[76:77], v[152:153]
	v_fma_f64 v[44:45], s[10:11], v[42:43], v[160:161]
	v_fmac_f64_e32 v[160:161], s[4:5], v[42:43]
	v_add_f64 v[42:43], v[156:157], v[76:77]
	v_fmac_f64_e32 v[156:157], -0.5, v[46:47]
	v_add_f64 v[46:47], v[62:63], -v[142:143]
	v_add_f64 v[50:51], v[74:75], v[150:151]
	v_add_f64 v[40:41], v[40:41], v[140:141]
	v_fma_f64 v[48:49], s[10:11], v[46:47], v[156:157]
	v_fmac_f64_e32 v[156:157], s[4:5], v[46:47]
	v_add_f64 v[46:47], v[154:155], v[74:75]
	v_fmac_f64_e32 v[154:155], -0.5, v[50:51]
	v_add_f64 v[50:51], v[58:59], -v[128:129]
	v_add_f64 v[42:43], v[42:43], v[152:153]
	v_add_f64 v[46:47], v[46:47], v[150:151]
	v_fma_f64 v[52:53], s[10:11], v[50:51], v[154:155]
	v_fmac_f64_e32 v[154:155], s[4:5], v[50:51]
	ds_write_b64 v88, v[158:159] offset:2400
	ds_write2_b64 v86, v[40:41], v[44:45] offset1:150
	ds_write_b64 v86, v[160:161] offset:2400
	ds_write2_b64 v87, v[42:43], v[48:49] offset1:150
	ds_write_b64 v87, v[156:157] offset:2400
	ds_write2_b64 v91, v[46:47], v[52:53] offset0:16 offset1:166
	ds_write_b64 v89, v[154:155] offset:31200
	v_add_co_u32_e32 v40, vcc, s14, v100
	s_waitcnt lgkmcnt(0)
	s_nop 0
	v_addc_co_u32_e32 v41, vcc, 0, v101, vcc
	s_barrier
	global_load_dwordx4 v[40:43], v[40:41], off offset:2944
	v_lshlrev_b32_e32 v44, 1, v187
	v_mov_b32_e32 v45, v99
	v_lshl_add_u64 v[102:103], v[44:45], 4, s[8:9]
	v_add_co_u32_e32 v60, vcc, s14, v102
	s_mov_b64 s[12:13], 0x1b80
	s_nop 0
	v_addc_co_u32_e32 v61, vcc, 0, v103, vcc
	v_lshl_add_u64 v[44:45], v[100:101], 0, s[12:13]
	global_load_dwordx4 v[48:51], v[44:45], off offset:16
	ds_read2_b64 v[52:55], v194 offset0:70 offset1:205
	v_lshl_add_u64 v[62:63], v[102:103], 0, s[12:13]
	global_load_dwordx4 v[56:59], v[60:61], off offset:2944
	global_load_dwordx4 v[44:47], v[62:63], off offset:16
	v_lshlrev_b32_e32 v60, 1, v190
	v_mov_b32_e32 v61, v99
	v_lshl_add_u64 v[104:105], v[60:61], 4, s[8:9]
	v_add_co_u32_e32 v60, vcc, s14, v104
	v_subrev_u32_e32 v62, 45, v178
	s_nop 0
	v_addc_co_u32_e32 v61, vcc, 0, v105, vcc
	v_cmp_gt_u32_e32 vcc, 45, v178
	v_mov_b32_e32 v63, v99
	v_add_u32_e32 v76, 0xb4, v98
	v_cndmask_b32_e32 v162, v62, v182, vcc
	v_lshlrev_b32_e32 v62, 1, v162
	v_lshl_add_u64 v[64:65], v[62:63], 4, s[8:9]
	v_lshl_add_u64 v[62:63], v[104:105], 0, s[12:13]
	global_load_dwordx4 v[72:75], v[60:61], off offset:2944
	s_nop 0
	global_load_dwordx4 v[60:63], v[62:63], off offset:16
	v_add_co_u32_e32 v66, vcc, s14, v64
	v_mov_b32_e32 v77, v99
	s_nop 0
	v_addc_co_u32_e32 v67, vcc, 0, v65, vcc
	v_lshl_add_u64 v[64:65], v[64:65], 0, s[12:13]
	global_load_dwordx4 v[68:71], v[66:67], off offset:2944
	s_nop 0
	global_load_dwordx4 v[64:67], v[64:65], off offset:16
	v_lshl_add_u64 v[76:77], v[76:77], 4, s[8:9]
	v_add_co_u32_e32 v78, vcc, s14, v76
	v_add_u32_e32 v98, 0x1c2, v98
	s_nop 0
	v_addc_co_u32_e32 v79, vcc, 0, v77, vcc
	v_lshl_add_u64 v[80:81], v[98:99], 4, s[8:9]
	v_lshl_add_u64 v[76:77], v[76:77], 0, s[12:13]
	v_mul_u32_u24_sdwa v163, v191, s16 dst_sel:DWORD dst_unused:UNUSED_PAD src0_sel:WORD_0 src1_sel:DWORD
	v_add_co_u32_e32 v82, vcc, s14, v80
	global_load_dwordx4 v[84:87], v[78:79], off offset:2944
	s_nop 0
	global_load_dwordx4 v[76:79], v[76:77], off offset:16
	v_mul_lo_u16_sdwa v98, v163, s15 dst_sel:DWORD dst_unused:UNUSED_PAD src0_sel:BYTE_3 src1_sel:DWORD
	v_addc_co_u32_e32 v83, vcc, 0, v81, vcc
	v_lshl_add_u64 v[80:81], v[80:81], 0, s[12:13]
	v_sub_u16_e32 v164, v191, v98
	global_load_dwordx4 v[88:91], v[82:83], off offset:2944
	s_nop 0
	global_load_dwordx4 v[80:83], v[80:81], off offset:16
	v_lshlrev_b32_e32 v98, 5, v164
	v_lshl_add_u64 v[122:123], s[8:9], 0, v[98:99]
	v_mul_u32_u24_sdwa v98, v174, s16 dst_sel:DWORD dst_unused:UNUSED_PAD src0_sel:WORD_0 src1_sel:DWORD
	v_mul_lo_u16_sdwa v98, v98, s15 dst_sel:DWORD dst_unused:UNUSED_PAD src0_sel:BYTE_3 src1_sel:DWORD
	v_sub_u16_e32 v165, v174, v98
	v_add_co_u32_e32 v124, vcc, s14, v122
	v_lshlrev_b32_e32 v98, 5, v165
	s_nop 0
	v_addc_co_u32_e32 v125, vcc, 0, v123, vcc
	v_lshl_add_u64 v[130:131], s[8:9], 0, v[98:99]
	v_mul_u32_u24_sdwa v98, v207, s16 dst_sel:DWORD dst_unused:UNUSED_PAD src0_sel:WORD_0 src1_sel:DWORD
	v_add_co_u32_e32 v132, vcc, s14, v130
	v_lshl_add_u64 v[122:123], v[122:123], 0, s[12:13]
	global_load_dwordx4 v[126:129], v[124:125], off offset:2944
	global_load_dwordx4 v[140:143], v[122:123], off offset:16
	v_mul_lo_u16_sdwa v98, v98, s15 dst_sel:DWORD dst_unused:UNUSED_PAD src0_sel:BYTE_3 src1_sel:DWORD
	v_addc_co_u32_e32 v133, vcc, 0, v131, vcc
	v_sub_u16_e32 v175, v207, v98
	v_lshl_add_u64 v[122:123], v[130:131], 0, s[12:13]
	global_load_dwordx4 v[144:147], v[132:133], off offset:2944
	global_load_dwordx4 v[148:151], v[122:123], off offset:16
	v_lshlrev_b32_e32 v98, 5, v175
	v_lshl_add_u64 v[122:123], s[8:9], 0, v[98:99]
	v_mul_u32_u24_sdwa v98, v208, s16 dst_sel:DWORD dst_unused:UNUSED_PAD src0_sel:WORD_0 src1_sel:DWORD
	v_mul_lo_u16_sdwa v98, v98, s15 dst_sel:DWORD dst_unused:UNUSED_PAD src0_sel:BYTE_3 src1_sel:DWORD
	s_waitcnt vmcnt(15) lgkmcnt(0)
	v_mul_f64 v[120:121], v[52:53], v[42:43]
	v_sub_u16_e32 v176, v208, v98
	v_fmac_f64_e32 v[120:121], v[36:37], v[40:41]
	v_add_co_u32_e32 v124, vcc, s14, v122
	v_lshlrev_b32_e32 v98, 5, v176
	v_mul_f64 v[36:37], v[36:37], v[42:43]
	v_addc_co_u32_e32 v125, vcc, 0, v123, vcc
	v_lshl_add_u64 v[130:131], s[8:9], 0, v[98:99]
	v_fma_f64 v[36:37], v[52:53], v[40:41], -v[36:37]
	v_lshl_add_u64 v[40:41], v[122:123], 0, s[12:13]
	global_load_dwordx4 v[152:155], v[124:125], off offset:2944
	v_add_co_u32_e32 v124, vcc, s14, v130
	global_load_dwordx4 v[166:169], v[40:41], off offset:16
	v_lshl_add_u64 v[42:43], v[130:131], 0, s[12:13]
	global_load_dwordx4 v[170:173], v[42:43], off offset:16
	v_addc_co_u32_e32 v125, vcc, 0, v131, vcc
	global_load_dwordx4 v[156:159], v[124:125], off offset:2944
	ds_read2_b64 v[122:125], v195 offset0:12 offset1:147
	s_waitcnt vmcnt(17)
	v_mul_f64 v[40:41], v[54:55], v[58:59]
	v_fmac_f64_e32 v[40:41], v[38:39], v[56:57]
	v_mul_f64 v[38:39], v[38:39], v[58:59]
	v_fma_f64 v[42:43], v[54:55], v[56:57], -v[38:39]
	s_waitcnt lgkmcnt(0)
	v_mul_f64 v[54:55], v[122:123], v[50:51]
	v_fmac_f64_e32 v[54:55], v[32:33], v[48:49]
	v_mul_f64 v[32:33], v[32:33], v[50:51]
	v_fma_f64 v[56:57], v[122:123], v[48:49], -v[32:33]
	ds_read2_b64 v[48:51], v196 offset0:84 offset1:219
	s_waitcnt vmcnt(16)
	v_mul_f64 v[52:53], v[124:125], v[46:47]
	v_fmac_f64_e32 v[52:53], v[34:35], v[44:45]
	v_mul_f64 v[32:33], v[34:35], v[46:47]
	v_fma_f64 v[44:45], v[124:125], v[44:45], -v[32:33]
	s_waitcnt vmcnt(15) lgkmcnt(0)
	v_mul_f64 v[34:35], v[48:49], v[74:75]
	v_fmac_f64_e32 v[34:35], v[28:29], v[72:73]
	v_mul_f64 v[28:29], v[28:29], v[74:75]
	v_fma_f64 v[74:75], v[48:49], v[72:73], -v[28:29]
	ds_read2_b64 v[46:49], v197 offset0:26 offset1:161
	s_waitcnt vmcnt(13)
	v_mul_f64 v[28:29], v[50:51], v[70:71]
	v_fmac_f64_e32 v[28:29], v[30:31], v[68:69]
	v_mul_f64 v[30:31], v[30:31], v[70:71]
	v_fma_f64 v[38:39], v[50:51], v[68:69], -v[30:31]
	s_waitcnt lgkmcnt(0)
	v_mul_f64 v[122:123], v[46:47], v[62:63]
	v_fmac_f64_e32 v[122:123], v[24:25], v[60:61]
	v_mul_f64 v[24:25], v[24:25], v[62:63]
	v_fma_f64 v[132:133], v[46:47], v[60:61], -v[24:25]
	s_waitcnt vmcnt(12)
	v_mul_f64 v[68:69], v[48:49], v[66:67]
	v_mul_f64 v[24:25], v[26:27], v[66:67]
	v_fmac_f64_e32 v[68:69], v[26:27], v[64:65]
	v_fma_f64 v[124:125], v[48:49], v[64:65], -v[24:25]
	ds_read2_b64 v[24:27], v199 offset0:40 offset1:175
	ds_read2_b64 v[58:61], v198 offset0:98 offset1:233
	v_cmp_lt_u32_e32 vcc, 44, v178
	s_movk_i32 s12, 0x2a30
	s_waitcnt vmcnt(10) lgkmcnt(1)
	v_mul_f64 v[70:71], v[24:25], v[78:79]
	s_waitcnt lgkmcnt(0)
	v_mul_f64 v[30:31], v[58:59], v[86:87]
	v_fmac_f64_e32 v[70:71], v[16:17], v[76:77]
	v_mul_f64 v[16:17], v[16:17], v[78:79]
	v_fmac_f64_e32 v[30:31], v[20:21], v[84:85]
	v_mul_f64 v[20:21], v[20:21], v[86:87]
	v_fma_f64 v[86:87], v[24:25], v[76:77], -v[16:17]
	s_waitcnt vmcnt(8)
	v_mul_f64 v[16:17], v[18:19], v[82:83]
	v_fma_f64 v[48:49], v[58:59], v[84:85], -v[20:21]
	v_mul_f64 v[32:33], v[60:61], v[90:91]
	v_mul_f64 v[20:21], v[22:23], v[90:91]
	;; [unrolled: 1-line block ×3, first 2 shown]
	v_fma_f64 v[90:91], v[26:27], v[80:81], -v[16:17]
	ds_read2_b64 v[24:27], v201 offset0:54 offset1:189
	v_fmac_f64_e32 v[32:33], v[22:23], v[88:89]
	v_fma_f64 v[60:61], v[60:61], v[88:89], -v[20:21]
	ds_read2_b64 v[20:23], v200 offset0:112 offset1:247
	v_fmac_f64_e32 v[76:77], v[18:19], v[80:81]
	s_waitcnt vmcnt(6) lgkmcnt(1)
	v_mul_f64 v[82:83], v[24:25], v[142:143]
	v_fmac_f64_e32 v[82:83], v[8:9], v[140:141]
	v_mul_f64 v[8:9], v[8:9], v[142:143]
	s_waitcnt lgkmcnt(0)
	v_mul_f64 v[18:19], v[20:21], v[128:129]
	v_fmac_f64_e32 v[18:19], v[12:13], v[126:127]
	v_mul_f64 v[12:13], v[12:13], v[128:129]
	v_fma_f64 v[130:131], v[24:25], v[140:141], -v[8:9]
	s_waitcnt vmcnt(4)
	v_mul_f64 v[78:79], v[26:27], v[150:151]
	v_mul_f64 v[8:9], v[10:11], v[150:151]
	v_fma_f64 v[72:73], v[20:21], v[126:127], -v[12:13]
	v_mul_f64 v[16:17], v[22:23], v[146:147]
	v_mul_f64 v[12:13], v[14:15], v[146:147]
	v_fmac_f64_e32 v[78:79], v[10:11], v[148:149]
	v_fma_f64 v[126:127], v[26:27], v[148:149], -v[8:9]
	ds_read2_b64 v[8:11], v206 offset0:68 offset1:203
	v_fmac_f64_e32 v[16:17], v[14:15], v[144:145]
	v_fma_f64 v[64:65], v[22:23], v[144:145], -v[12:13]
	ds_read2_b64 v[12:15], v205 offset0:62 offset1:197
	s_waitcnt vmcnt(2) lgkmcnt(1)
	v_mul_f64 v[128:129], v[8:9], v[168:169]
	v_fmac_f64_e32 v[128:129], v[0:1], v[166:167]
	s_waitcnt lgkmcnt(0)
	v_mul_f64 v[66:67], v[12:13], v[154:155]
	v_mul_f64 v[0:1], v[0:1], v[168:169]
	s_waitcnt vmcnt(1)
	v_mul_f64 v[88:89], v[10:11], v[172:173]
	v_fmac_f64_e32 v[66:67], v[4:5], v[152:153]
	v_mul_f64 v[4:5], v[4:5], v[154:155]
	s_waitcnt vmcnt(0)
	v_mul_f64 v[50:51], v[14:15], v[158:159]
	v_fma_f64 v[140:141], v[8:9], v[166:167], -v[0:1]
	v_fmac_f64_e32 v[88:89], v[2:3], v[170:171]
	v_mul_f64 v[0:1], v[2:3], v[172:173]
	v_add_f64 v[2:3], v[120:121], v[54:55]
	v_fma_f64 v[84:85], v[12:13], v[152:153], -v[4:5]
	v_fmac_f64_e32 v[50:51], v[6:7], v[156:157]
	v_mul_f64 v[4:5], v[6:7], v[158:159]
	v_fma_f64 v[134:135], v[10:11], v[170:171], -v[0:1]
	v_add_f64 v[0:1], v[118:119], v[120:121]
	v_fmac_f64_e32 v[118:119], -0.5, v[2:3]
	v_add_f64 v[2:3], v[36:37], -v[56:57]
	v_add_f64 v[6:7], v[40:41], v[52:53]
	v_fma_f64 v[80:81], v[14:15], v[156:157], -v[4:5]
	v_fma_f64 v[4:5], s[4:5], v[2:3], v[118:119]
	v_fmac_f64_e32 v[118:119], s[10:11], v[2:3]
	v_add_f64 v[2:3], v[116:117], v[40:41]
	v_fmac_f64_e32 v[116:117], -0.5, v[6:7]
	v_add_f64 v[6:7], v[42:43], -v[44:45]
	v_add_f64 v[0:1], v[0:1], v[54:55]
	v_fma_f64 v[8:9], s[4:5], v[6:7], v[116:117]
	v_fmac_f64_e32 v[116:117], s[10:11], v[6:7]
	v_add_f64 v[6:7], v[114:115], v[34:35]
	v_add_f64 v[10:11], v[34:35], v[122:123]
	ds_read_b64 v[160:161], v181
	ds_read_b64 v[158:159], v192
	;; [unrolled: 1-line block ×7, first 2 shown]
	ds_read_b64 v[146:147], v202 offset:7560
	ds_read_b64 v[144:145], v203
	ds_read_b64 v[142:143], v204
	s_waitcnt lgkmcnt(0)
	s_barrier
	ds_write_b64 v181, v[0:1]
	ds_write_b64 v181, v[4:5] offset:3600
	ds_write_b64 v181, v[118:119] offset:7200
	v_add_f64 v[0:1], v[2:3], v[52:53]
	v_fmac_f64_e32 v[114:115], -0.5, v[10:11]
	v_add_f64 v[10:11], v[74:75], -v[132:133]
	ds_write_b64 v192, v[0:1]
	ds_write_b64 v192, v[8:9] offset:3600
	ds_write_b64 v192, v[116:117] offset:7200
	v_add_f64 v[0:1], v[6:7], v[122:123]
	v_fma_f64 v[12:13], s[4:5], v[10:11], v[114:115]
	v_fmac_f64_e32 v[114:115], s[10:11], v[10:11]
	ds_write_b64 v193, v[0:1]
	ds_write_b64 v193, v[12:13] offset:3600
	ds_write_b64 v193, v[114:115] offset:7200
	v_mov_b32_e32 v0, 0x2a30
	v_add_f64 v[10:11], v[112:113], v[28:29]
	v_add_f64 v[14:15], v[28:29], v[68:69]
	v_cndmask_b32_e32 v0, 0, v0, vcc
	v_lshlrev_b32_e32 v1, 3, v162
	v_fmac_f64_e32 v[112:113], -0.5, v[14:15]
	v_add_f64 v[14:15], v[38:39], -v[124:125]
	v_add3_u32 v98, 0, v0, v1
	v_add_f64 v[0:1], v[10:11], v[68:69]
	v_fma_f64 v[20:21], s[4:5], v[14:15], v[112:113]
	v_fmac_f64_e32 v[112:113], s[10:11], v[14:15]
	ds_write_b64 v98, v[0:1]
	ds_write_b64 v98, v[20:21] offset:3600
	ds_write_b64 v98, v[112:113] offset:7200
	v_add_f64 v[0:1], v[108:109], v[30:31]
	v_add_f64 v[2:3], v[110:111], v[32:33]
	;; [unrolled: 1-line block ×4, first 2 shown]
	v_add_u32_e32 v162, 0x2c00, v202
	ds_write2_b64 v162, v[0:1], v[2:3] offset0:32 offset1:167
	v_add_f64 v[0:1], v[30:31], v[70:71]
	v_fmac_f64_e32 v[108:109], -0.5, v[0:1]
	v_add_f64 v[0:1], v[32:33], v[76:77]
	v_fmac_f64_e32 v[110:111], -0.5, v[0:1]
	v_add_f64 v[0:1], v[48:49], -v[86:87]
	v_fma_f64 v[2:3], s[4:5], v[0:1], v[108:109]
	v_fmac_f64_e32 v[108:109], s[10:11], v[0:1]
	v_add_f64 v[0:1], v[160:161], v[36:37]
	v_add_f64 v[166:167], v[0:1], v[56:57]
	;; [unrolled: 1-line block ×3, first 2 shown]
	v_fmac_f64_e32 v[160:161], -0.5, v[0:1]
	v_add_f64 v[0:1], v[120:121], -v[54:55]
	v_add_f64 v[4:5], v[60:61], -v[90:91]
	v_fma_f64 v[120:121], s[10:11], v[0:1], v[160:161]
	v_fmac_f64_e32 v[160:161], s[4:5], v[0:1]
	v_add_f64 v[0:1], v[158:159], v[42:43]
	v_add_u32_e32 v172, 0x3800, v202
	v_fma_f64 v[6:7], s[4:5], v[4:5], v[110:111]
	v_add_f64 v[168:169], v[0:1], v[44:45]
	v_add_f64 v[0:1], v[42:43], v[44:45]
	ds_write2_b64 v172, v[2:3], v[6:7] offset0:98 offset1:233
	v_fmac_f64_e32 v[158:159], -0.5, v[0:1]
	v_add_f64 v[0:1], v[40:41], -v[52:53]
	v_add_f64 v[2:3], v[18:19], v[82:83]
	v_fma_f64 v[170:171], s[10:11], v[0:1], v[158:159]
	v_fmac_f64_e32 v[158:159], s[4:5], v[0:1]
	v_add_f64 v[0:1], v[106:107], v[18:19]
	v_fmac_f64_e32 v[106:107], -0.5, v[2:3]
	v_add_f64 v[2:3], v[72:73], -v[130:131]
	v_add_f64 v[6:7], v[16:17], v[78:79]
	v_fmac_f64_e32 v[110:111], s[10:11], v[4:5]
	v_fma_f64 v[4:5], s[4:5], v[2:3], v[106:107]
	v_fmac_f64_e32 v[106:107], s[10:11], v[2:3]
	v_add_f64 v[2:3], v[96:97], v[16:17]
	v_fmac_f64_e32 v[96:97], -0.5, v[6:7]
	v_add_f64 v[6:7], v[64:65], -v[126:127]
	v_add_f64 v[10:11], v[66:67], v[128:129]
	v_fma_f64 v[8:9], s[4:5], v[6:7], v[96:97]
	v_fmac_f64_e32 v[96:97], s[10:11], v[6:7]
	v_add_f64 v[6:7], v[94:95], v[66:67]
	v_fmac_f64_e32 v[94:95], -0.5, v[10:11]
	v_add_f64 v[10:11], v[84:85], -v[140:141]
	v_add_f64 v[14:15], v[50:51], v[88:89]
	v_fma_f64 v[12:13], s[4:5], v[10:11], v[94:95]
	v_fmac_f64_e32 v[94:95], s[10:11], v[10:11]
	v_add_f64 v[10:11], v[92:93], v[50:51]
	v_fmac_f64_e32 v[92:93], -0.5, v[14:15]
	v_add_f64 v[14:15], v[80:81], -v[134:135]
	v_fma_f64 v[20:21], s[4:5], v[14:15], v[92:93]
	v_fmac_f64_e32 v[92:93], s[10:11], v[14:15]
	v_mul_u32_u24_sdwa v14, v163, s12 dst_sel:DWORD dst_unused:UNUSED_PAD src0_sel:BYTE_3 src1_sel:DWORD
	v_lshlrev_b32_e32 v15, 3, v164
	v_add_u32_e32 v173, 0x4800, v202
	v_add3_u32 v163, 0, v14, v15
	v_add_f64 v[0:1], v[0:1], v[82:83]
	ds_write2_b64 v173, v[108:109], v[110:111] offset0:36 offset1:171
	ds_write_b64 v163, v[0:1]
	ds_write_b64 v163, v[4:5] offset:3600
	ds_write_b64 v163, v[106:107] offset:7200
	v_add_f64 v[0:1], v[2:3], v[78:79]
	v_lshl_add_u32 v164, v165, 3, 0
	ds_write_b64 v164, v[0:1] offset:21600
	ds_write_b64 v164, v[8:9] offset:25200
	ds_write_b64 v164, v[96:97] offset:28800
	v_add_f64 v[0:1], v[6:7], v[128:129]
	v_lshl_add_u32 v96, v175, 3, 0
	ds_write_b64 v96, v[0:1] offset:21600
	;; [unrolled: 5-line block ×3, first 2 shown]
	ds_write_b64 v97, v[20:21] offset:25200
	ds_write_b64 v97, v[92:93] offset:28800
	s_waitcnt lgkmcnt(0)
	s_barrier
	ds_read_b64 v[106:107], v181
	ds_read_b64 v[108:109], v192
	;; [unrolled: 1-line block ×7, first 2 shown]
	ds_read_b64 v[62:63], v202 offset:7560
	ds_read_b64 v[36:37], v203
	ds_read_b64 v[92:93], v204
	ds_read2_b64 v[4:7], v194 offset0:70 offset1:205
	ds_read2_b64 v[0:3], v195 offset0:12 offset1:147
	;; [unrolled: 1-line block ×10, first 2 shown]
	v_add_f64 v[94:95], v[156:157], v[74:75]
	v_add_f64 v[74:75], v[74:75], v[132:133]
	v_fmac_f64_e32 v[156:157], -0.5, v[74:75]
	v_add_f64 v[34:35], v[34:35], -v[122:123]
	v_fma_f64 v[74:75], s[10:11], v[34:35], v[156:157]
	v_fmac_f64_e32 v[156:157], s[4:5], v[34:35]
	v_add_f64 v[34:35], v[154:155], v[38:39]
	v_add_f64 v[38:39], v[38:39], v[124:125]
	;; [unrolled: 1-line block ×4, first 2 shown]
	v_fmac_f64_e32 v[154:155], -0.5, v[38:39]
	v_add_f64 v[28:29], v[28:29], -v[68:69]
	s_waitcnt lgkmcnt(0)
	s_barrier
	ds_write_b64 v181, v[166:167]
	ds_write_b64 v181, v[120:121] offset:3600
	ds_write_b64 v181, v[160:161] offset:7200
	ds_write_b64 v192, v[168:169]
	ds_write_b64 v192, v[170:171] offset:3600
	ds_write_b64 v192, v[158:159] offset:7200
	;; [unrolled: 3-line block ×3, first 2 shown]
	v_fma_f64 v[38:39], s[10:11], v[28:29], v[154:155]
	v_fmac_f64_e32 v[154:155], s[4:5], v[28:29]
	ds_write_b64 v98, v[34:35]
	ds_write_b64 v98, v[38:39] offset:3600
	ds_write_b64 v98, v[154:155] offset:7200
	v_add_f64 v[28:29], v[150:151], v[48:49]
	v_add_f64 v[34:35], v[152:153], v[60:61]
	;; [unrolled: 1-line block ×4, first 2 shown]
	ds_write2_b64 v162, v[28:29], v[34:35] offset0:32 offset1:167
	v_add_f64 v[28:29], v[48:49], v[86:87]
	v_fmac_f64_e32 v[150:151], -0.5, v[28:29]
	v_add_f64 v[28:29], v[30:31], -v[70:71]
	v_add_f64 v[30:31], v[60:61], v[90:91]
	v_fmac_f64_e32 v[152:153], -0.5, v[30:31]
	v_add_f64 v[30:31], v[32:33], -v[76:77]
	v_fma_f64 v[32:33], s[10:11], v[28:29], v[150:151]
	v_fma_f64 v[34:35], s[10:11], v[30:31], v[152:153]
	v_fmac_f64_e32 v[152:153], s[4:5], v[30:31]
	v_add_f64 v[30:31], v[72:73], v[130:131]
	ds_write2_b64 v172, v[32:33], v[34:35] offset0:98 offset1:233
	v_fmac_f64_e32 v[150:151], s[4:5], v[28:29]
	v_add_f64 v[28:29], v[148:149], v[72:73]
	v_fmac_f64_e32 v[148:149], -0.5, v[30:31]
	v_add_f64 v[18:19], v[18:19], -v[82:83]
	v_add_f64 v[32:33], v[64:65], v[126:127]
	v_fma_f64 v[30:31], s[10:11], v[18:19], v[148:149]
	v_fmac_f64_e32 v[148:149], s[4:5], v[18:19]
	v_add_f64 v[18:19], v[146:147], v[64:65]
	v_fmac_f64_e32 v[146:147], -0.5, v[32:33]
	v_add_f64 v[16:17], v[16:17], -v[78:79]
	v_add_f64 v[34:35], v[84:85], v[140:141]
	v_fma_f64 v[32:33], s[10:11], v[16:17], v[146:147]
	v_fmac_f64_e32 v[146:147], s[4:5], v[16:17]
	v_add_f64 v[16:17], v[144:145], v[84:85]
	v_fmac_f64_e32 v[144:145], -0.5, v[34:35]
	v_add_f64 v[34:35], v[66:67], -v[128:129]
	v_add_f64 v[48:49], v[80:81], v[134:135]
	v_add_f64 v[28:29], v[28:29], v[130:131]
	v_fma_f64 v[38:39], s[10:11], v[34:35], v[144:145]
	v_fmac_f64_e32 v[144:145], s[4:5], v[34:35]
	v_add_f64 v[34:35], v[142:143], v[80:81]
	v_fmac_f64_e32 v[142:143], -0.5, v[48:49]
	v_add_f64 v[48:49], v[50:51], -v[88:89]
	s_movk_i32 s12, 0x5000
	ds_write2_b64 v173, v[150:151], v[152:153] offset0:36 offset1:171
	v_add_f64 v[18:19], v[18:19], v[126:127]
	v_add_f64 v[16:17], v[16:17], v[140:141]
	;; [unrolled: 1-line block ×3, first 2 shown]
	v_fma_f64 v[50:51], s[10:11], v[48:49], v[142:143]
	v_fmac_f64_e32 v[142:143], s[4:5], v[48:49]
	ds_write_b64 v163, v[28:29]
	ds_write_b64 v163, v[30:31] offset:3600
	ds_write_b64 v163, v[148:149] offset:7200
	ds_write_b64 v164, v[18:19] offset:21600
	ds_write_b64 v164, v[32:33] offset:25200
	ds_write_b64 v164, v[146:147] offset:28800
	ds_write_b64 v96, v[16:17] offset:21600
	ds_write_b64 v96, v[38:39] offset:25200
	ds_write_b64 v96, v[144:145] offset:28800
	ds_write_b64 v97, v[34:35] offset:21600
	ds_write_b64 v97, v[50:51] offset:25200
	ds_write_b64 v97, v[142:143] offset:28800
	s_waitcnt lgkmcnt(0)
	s_barrier
	s_and_saveexec_b64 s[14:15], s[0:1]
	s_cbranch_execz .LBB0_15
; %bb.14:
	v_lshlrev_b32_e32 v98, 1, v208
	v_lshl_add_u64 v[16:17], v[98:99], 4, s[8:9]
	s_mov_b64 s[0:1], 0x53c0
	v_add_co_u32_e32 v34, vcc, 0x5000, v16
	v_lshl_add_u64 v[32:33], v[16:17], 0, s[0:1]
	s_nop 0
	v_addc_co_u32_e32 v35, vcc, 0, v17, vcc
	v_lshlrev_b32_e32 v98, 1, v207
	global_load_dwordx4 v[16:19], v[34:35], off offset:960
	global_load_dwordx4 v[28:31], v[32:33], off offset:16
	v_lshl_add_u64 v[32:33], v[98:99], 4, s[8:9]
	v_add_co_u32_e32 v48, vcc, s12, v32
	v_lshl_add_u64 v[38:39], v[32:33], 0, s[0:1]
	s_nop 0
	v_addc_co_u32_e32 v49, vcc, 0, v33, vcc
	global_load_dwordx4 v[32:35], v[48:49], off offset:960
	global_load_dwordx4 v[74:77], v[38:39], off offset:16
	v_lshlrev_b32_e32 v98, 1, v174
	v_lshl_add_u64 v[38:39], v[98:99], 4, s[8:9]
	v_add_co_u32_e32 v48, vcc, s12, v38
	v_mul_lo_u32 v60, s3, v138
	s_nop 0
	v_addc_co_u32_e32 v49, vcc, 0, v39, vcc
	global_load_dwordx4 v[94:97], v[48:49], off offset:960
	v_lshl_add_u64 v[38:39], v[38:39], 0, s[0:1]
	global_load_dwordx4 v[124:127], v[38:39], off offset:16
	v_mul_lo_u32 v61, s2, v139
	v_mad_u64_u32 v[120:121], s[2:3], s2, v138, 0
	v_lshlrev_b32_e32 v98, 1, v191
	v_add3_u32 v121, v121, v61, v60
	v_lshl_add_u64 v[60:61], v[98:99], 4, s[8:9]
	v_lshl_add_u64 v[64:65], v[60:61], 0, s[0:1]
	v_add_co_u32_e32 v60, vcc, s12, v60
	ds_read2_b64 v[78:81], v205 offset0:62 offset1:197
	ds_read2_b64 v[82:85], v206 offset0:68 offset1:203
	ds_read_b64 v[38:39], v204
	ds_read_b64 v[50:51], v203
	ds_read_b64 v[48:49], v202 offset:7560
	v_addc_co_u32_e32 v61, vcc, 0, v61, vcc
	global_load_dwordx4 v[66:69], v[60:61], off offset:960
	global_load_dwordx4 v[70:73], v[64:65], off offset:16
	v_lshlrev_b32_e32 v98, 1, v188
	v_mul_i32_i24_e32 v133, 0xffffffb8, v190
	v_mul_i32_i24_e32 v132, 0xffffffb8, v187
	ds_read_b64 v[130:131], v184
	s_waitcnt vmcnt(7)
	v_mul_f64 v[60:61], v[10:11], v[18:19]
	s_waitcnt vmcnt(6)
	v_mul_f64 v[64:65], v[14:15], v[30:31]
	s_waitcnt lgkmcnt(5)
	v_mul_f64 v[18:19], v[80:81], v[18:19]
	s_waitcnt lgkmcnt(4)
	v_mul_f64 v[30:31], v[84:85], v[30:31]
	v_fmac_f64_e32 v[18:19], v[10:11], v[16:17]
	v_fmac_f64_e32 v[30:31], v[14:15], v[28:29]
	s_waitcnt vmcnt(5)
	v_mul_f64 v[86:87], v[8:9], v[34:35]
	v_mul_f64 v[90:91], v[78:79], v[34:35]
	v_fma_f64 v[34:35], v[16:17], v[80:81], -v[60:61]
	v_fma_f64 v[60:61], v[28:29], v[84:85], -v[64:65]
	s_waitcnt vmcnt(4)
	v_mul_f64 v[88:89], v[12:13], v[76:77]
	v_fmac_f64_e32 v[90:91], v[8:9], v[32:33]
	v_add_f64 v[8:9], v[34:35], v[60:61]
	v_mul_f64 v[122:123], v[82:83], v[76:77]
	v_fma_f64 v[28:29], v[32:33], v[78:79], -v[86:87]
	v_fma_f64 v[64:65], v[74:75], v[82:83], -v[88:89]
	v_add_f64 v[32:33], v[18:19], -v[30:31]
	s_waitcnt lgkmcnt(3)
	v_add_f64 v[10:11], v[38:39], v[34:35]
	v_fma_f64 v[14:15], -0.5, v[8:9], v[38:39]
	v_fmac_f64_e32 v[122:123], v[12:13], v[74:75]
	v_add_f64 v[12:13], v[18:19], v[30:31]
	v_add_f64 v[74:75], v[34:35], -v[60:61]
	v_add_f64 v[16:17], v[92:93], v[18:19]
	v_add_f64 v[34:35], v[28:29], v[64:65]
	;; [unrolled: 1-line block ×3, first 2 shown]
	v_fma_f64 v[10:11], s[4:5], v[32:33], v[14:15]
	v_fmac_f64_e32 v[14:15], s[10:11], v[32:33]
	v_lshl_add_u64 v[32:33], v[98:99], 4, s[8:9]
	s_waitcnt lgkmcnt(2)
	v_add_f64 v[78:79], v[50:51], v[28:29]
	v_fma_f64 v[34:35], -0.5, v[34:35], v[50:51]
	v_add_co_u32_e32 v50, vcc, s12, v32
	v_add_f64 v[76:77], v[90:91], -v[122:123]
	s_nop 0
	v_addc_co_u32_e32 v51, vcc, 0, v33, vcc
	v_add_f64 v[84:85], v[90:91], v[122:123]
	v_add_f64 v[16:17], v[16:17], v[30:31]
	;; [unrolled: 1-line block ×3, first 2 shown]
	v_fma_f64 v[30:31], s[4:5], v[76:77], v[34:35]
	v_fmac_f64_e32 v[34:35], s[10:11], v[76:77]
	global_load_dwordx4 v[76:79], v[50:51], off offset:960
	v_lshl_add_u64 v[32:33], v[32:33], 0, s[0:1]
	global_load_dwordx4 v[80:83], v[32:33], off offset:16
	v_fma_f64 v[32:33], -0.5, v[84:85], v[36:37]
	ds_read2_b64 v[84:87], v200 offset0:112 offset1:247
	v_add_f64 v[50:51], v[28:29], -v[64:65]
	v_fma_f64 v[12:13], -0.5, v[12:13], v[92:93]
	v_fma_f64 v[28:29], s[10:11], v[50:51], v[32:33]
	v_fmac_f64_e32 v[32:33], s[4:5], v[50:51]
	v_add_f64 v[36:37], v[36:37], v[90:91]
	ds_read2_b64 v[88:91], v201 offset0:54 offset1:189
	s_waitcnt vmcnt(5)
	v_mul_f64 v[50:51], v[58:59], v[96:97]
	v_fma_f64 v[8:9], s[10:11], v[74:75], v[12:13]
	v_fmac_f64_e32 v[12:13], s[4:5], v[74:75]
	s_waitcnt lgkmcnt(1)
	v_fma_f64 v[74:75], v[94:95], v[86:87], -v[50:51]
	v_mul_f64 v[86:87], v[86:87], v[96:97]
	v_lshlrev_b32_e32 v98, 1, v186
	v_fmac_f64_e32 v[86:87], v[58:59], v[94:95]
	v_lshl_add_u64 v[58:59], v[98:99], 4, s[8:9]
	v_add_co_u32_e32 v60, vcc, s12, v58
	s_waitcnt vmcnt(4)
	v_mul_f64 v[50:51], v[54:55], v[126:127]
	v_addc_co_u32_e32 v61, vcc, 0, v59, vcc
	s_waitcnt lgkmcnt(0)
	v_fma_f64 v[128:129], v[124:125], v[90:91], -v[50:51]
	v_mul_f64 v[126:127], v[90:91], v[126:127]
	global_load_dwordx4 v[90:93], v[60:61], off offset:960
	v_lshl_add_u64 v[58:59], v[58:59], 0, s[0:1]
	global_load_dwordx4 v[94:97], v[58:59], off offset:16
	v_add_f64 v[50:51], v[74:75], v[128:129]
	v_fma_f64 v[50:51], -0.5, v[50:51], v[48:49]
	v_fmac_f64_e32 v[126:127], v[54:55], v[124:125]
	v_add_f64 v[48:49], v[48:49], v[74:75]
	v_add_f64 v[54:55], v[86:87], -v[126:127]
	v_add_f64 v[64:65], v[48:49], v[128:129]
	v_add_f64 v[48:49], v[86:87], v[126:127]
	v_fma_f64 v[60:61], s[4:5], v[54:55], v[50:51]
	v_fmac_f64_e32 v[50:51], s[10:11], v[54:55]
	v_fma_f64 v[48:49], -0.5, v[48:49], v[62:63]
	v_add_f64 v[54:55], v[74:75], -v[128:129]
	v_fma_f64 v[58:59], s[10:11], v[54:55], v[48:49]
	v_fmac_f64_e32 v[48:49], s[4:5], v[54:55]
	v_add_f64 v[54:55], v[62:63], v[86:87]
	v_add_f64 v[62:63], v[54:55], v[126:127]
	s_waitcnt vmcnt(5)
	v_mul_f64 v[54:55], v[56:57], v[68:69]
	v_fma_f64 v[86:87], v[66:67], v[84:85], -v[54:55]
	v_mul_f64 v[84:85], v[84:85], v[68:69]
	v_lshlrev_b32_e32 v98, 1, v182
	v_fmac_f64_e32 v[84:85], v[56:57], v[66:67]
	v_lshl_add_u64 v[66:67], v[98:99], 4, s[8:9]
	v_add_co_u32_e32 v68, vcc, s12, v66
	v_add_f64 v[36:37], v[36:37], v[122:123]
	ds_read_b64 v[122:123], v189
	v_addc_co_u32_e32 v69, vcc, 0, v67, vcc
	v_lshl_add_u64 v[66:67], v[66:67], 0, s[0:1]
	ds_read_b64 v[124:125], v185
	ds_read_b64 v[126:127], v183
	;; [unrolled: 1-line block ×3, first 2 shown]
	global_load_dwordx4 v[138:141], v[68:69], off offset:960
	global_load_dwordx4 v[142:145], v[66:67], off offset:16
	s_waitcnt vmcnt(6)
	v_mul_f64 v[54:55], v[52:53], v[72:73]
	v_fma_f64 v[128:129], v[70:71], v[88:89], -v[54:55]
	v_mul_f64 v[56:57], v[88:89], v[72:73]
	v_add_f64 v[54:55], v[86:87], v[128:129]
	v_fmac_f64_e32 v[56:57], v[52:53], v[70:71]
	v_fma_f64 v[74:75], -0.5, v[54:55], v[130:131]
	v_add_f64 v[52:53], v[84:85], -v[56:57]
	v_fma_f64 v[54:55], s[4:5], v[52:53], v[74:75]
	v_fmac_f64_e32 v[74:75], s[10:11], v[52:53]
	v_add_f64 v[52:53], v[130:131], v[86:87]
	v_add_f64 v[68:69], v[52:53], v[128:129]
	v_add_f64 v[66:67], v[86:87], -v[128:129]
	ds_read2_b64 v[128:131], v198 offset0:98 offset1:233
	v_add_f64 v[52:53], v[84:85], v[56:57]
	v_fma_f64 v[72:73], -0.5, v[52:53], v[118:119]
	ds_read2_b64 v[146:149], v199 offset0:40 offset1:175
	v_fma_f64 v[52:53], s[10:11], v[66:67], v[72:73]
	v_fmac_f64_e32 v[72:73], s[4:5], v[66:67]
	v_add_f64 v[66:67], v[118:119], v[84:85]
	v_add_f64 v[66:67], v[66:67], v[56:57]
	s_waitcnt vmcnt(5)
	v_mul_f64 v[56:57], v[46:47], v[78:79]
	s_waitcnt lgkmcnt(1)
	v_mul_f64 v[86:87], v[130:131], v[78:79]
	v_add_co_u32_e32 v78, vcc, s12, v104
	s_waitcnt vmcnt(4)
	v_mul_f64 v[70:71], v[42:43], v[82:83]
	v_addc_co_u32_e32 v79, vcc, 0, v105, vcc
	global_load_dwordx4 v[150:153], v[78:79], off offset:960
	v_lshl_add_u64 v[78:79], v[104:105], 0, s[0:1]
	v_fma_f64 v[56:57], v[76:77], v[130:131], -v[56:57]
	s_waitcnt lgkmcnt(0)
	v_fma_f64 v[70:71], v[80:81], v[148:149], -v[70:71]
	global_load_dwordx4 v[154:157], v[78:79], off offset:16
	v_fmac_f64_e32 v[86:87], v[46:47], v[76:77]
	v_mul_f64 v[46:47], v[148:149], v[82:83]
	v_add_f64 v[84:85], v[56:57], v[70:71]
	v_fmac_f64_e32 v[46:47], v[42:43], v[80:81]
	v_fma_f64 v[84:85], -0.5, v[84:85], v[122:123]
	v_add_f64 v[42:43], v[86:87], -v[46:47]
	v_fma_f64 v[78:79], s[4:5], v[42:43], v[84:85]
	v_fmac_f64_e32 v[84:85], s[10:11], v[42:43]
	v_add_f64 v[42:43], v[122:123], v[56:57]
	v_add_f64 v[88:89], v[42:43], v[70:71]
	;; [unrolled: 1-line block ×3, first 2 shown]
	v_fma_f64 v[82:83], -0.5, v[42:43], v[116:117]
	v_add_f64 v[42:43], v[56:57], -v[70:71]
	v_fma_f64 v[76:77], s[10:11], v[42:43], v[82:83]
	v_fmac_f64_e32 v[82:83], s[4:5], v[42:43]
	v_add_f64 v[42:43], v[116:117], v[86:87]
	v_add_f64 v[86:87], v[42:43], v[46:47]
	s_waitcnt vmcnt(5)
	v_mul_f64 v[42:43], v[44:45], v[92:93]
	v_fma_f64 v[56:57], v[90:91], v[128:129], -v[42:43]
	s_waitcnt vmcnt(4)
	v_mul_f64 v[42:43], v[40:41], v[96:97]
	v_fma_f64 v[70:71], v[94:95], v[146:147], -v[42:43]
	v_add_co_u32_e32 v42, vcc, s12, v102
	v_mul_f64 v[80:81], v[128:129], v[92:93]
	s_nop 0
	v_addc_co_u32_e32 v43, vcc, 0, v103, vcc
	global_load_dwordx4 v[116:119], v[42:43], off offset:960
	v_lshl_add_u64 v[42:43], v[102:103], 0, s[0:1]
	global_load_dwordx4 v[102:105], v[42:43], off offset:16
	v_fmac_f64_e32 v[80:81], v[44:45], v[90:91]
	v_mul_f64 v[90:91], v[146:147], v[96:97]
	v_add_f64 v[42:43], v[56:57], v[70:71]
	v_fmac_f64_e32 v[90:91], v[40:41], v[94:95]
	v_fma_f64 v[46:47], -0.5, v[42:43], v[124:125]
	v_add_f64 v[40:41], v[80:81], -v[90:91]
	v_fma_f64 v[42:43], s[4:5], v[40:41], v[46:47]
	v_fmac_f64_e32 v[46:47], s[10:11], v[40:41]
	v_add_f64 v[40:41], v[124:125], v[56:57]
	v_add_f64 v[92:93], v[40:41], v[70:71]
	v_add_f64 v[56:57], v[56:57], -v[70:71]
	v_add_co_u32_e32 v70, vcc, s12, v100
	ds_read2_b64 v[128:131], v196 offset0:84 offset1:219
	s_nop 0
	v_addc_co_u32_e32 v71, vcc, 0, v101, vcc
	global_load_dwordx4 v[94:97], v[70:71], off offset:960
	v_lshl_add_u64 v[70:71], v[100:101], 0, s[0:1]
	global_load_dwordx4 v[122:125], v[70:71], off offset:16
	ds_read2_b64 v[146:149], v197 offset0:26 offset1:161
	v_add_f64 v[40:41], v[80:81], v[90:91]
	v_fma_f64 v[44:45], -0.5, v[40:41], v[114:115]
	v_fma_f64 v[40:41], s[10:11], v[56:57], v[44:45]
	v_fmac_f64_e32 v[44:45], s[4:5], v[56:57]
	v_add_f64 v[56:57], v[114:115], v[80:81]
	v_add_f64 v[90:91], v[56:57], v[90:91]
	s_waitcnt vmcnt(7)
	v_mul_f64 v[56:57], v[26:27], v[140:141]
	s_waitcnt vmcnt(6)
	v_mul_f64 v[70:71], v[22:23], v[144:145]
	s_waitcnt lgkmcnt(1)
	v_fma_f64 v[56:57], v[138:139], v[130:131], -v[56:57]
	s_waitcnt lgkmcnt(0)
	v_fma_f64 v[70:71], v[142:143], v[148:149], -v[70:71]
	v_add_f64 v[80:81], v[56:57], v[70:71]
	v_fma_f64 v[160:161], -0.5, v[80:81], v[126:127]
	v_mul_f64 v[80:81], v[130:131], v[140:141]
	v_fmac_f64_e32 v[80:81], v[26:27], v[138:139]
	v_mul_f64 v[26:27], v[148:149], v[144:145]
	v_fmac_f64_e32 v[26:27], v[22:23], v[142:143]
	v_add_f64 v[22:23], v[80:81], -v[26:27]
	v_fma_f64 v[140:141], s[4:5], v[22:23], v[160:161]
	v_fmac_f64_e32 v[160:161], s[10:11], v[22:23]
	v_add_f64 v[22:23], v[126:127], v[56:57]
	v_add_f64 v[114:115], v[22:23], v[70:71]
	;; [unrolled: 1-line block ×3, first 2 shown]
	v_fma_f64 v[158:159], -0.5, v[22:23], v[112:113]
	v_add_f64 v[22:23], v[56:57], -v[70:71]
	v_fma_f64 v[138:139], s[10:11], v[22:23], v[158:159]
	v_fmac_f64_e32 v[158:159], s[4:5], v[22:23]
	v_add_f64 v[22:23], v[112:113], v[80:81]
	v_add_f64 v[112:113], v[22:23], v[26:27]
	v_add_u32_e32 v22, v180, v133
	ds_read_b64 v[56:57], v22
	s_waitcnt vmcnt(5)
	v_mul_f64 v[22:23], v[24:25], v[152:153]
	v_fma_f64 v[70:71], v[150:151], v[128:129], -v[22:23]
	s_waitcnt vmcnt(4)
	v_mul_f64 v[22:23], v[20:21], v[156:157]
	v_fma_f64 v[80:81], v[154:155], v[146:147], -v[22:23]
	v_mul_f64 v[100:101], v[128:129], v[152:153]
	v_mul_f64 v[126:127], v[146:147], v[156:157]
	v_add_f64 v[22:23], v[70:71], v[80:81]
	v_fmac_f64_e32 v[100:101], v[24:25], v[150:151]
	v_fmac_f64_e32 v[126:127], v[20:21], v[154:155]
	s_waitcnt lgkmcnt(0)
	v_fma_f64 v[22:23], -0.5, v[22:23], v[56:57]
	v_add_f64 v[20:21], v[100:101], -v[126:127]
	v_fma_f64 v[26:27], s[4:5], v[20:21], v[22:23]
	v_fmac_f64_e32 v[22:23], s[10:11], v[20:21]
	v_add_f64 v[20:21], v[56:57], v[70:71]
	v_add_f64 v[128:129], v[20:21], v[80:81]
	v_add_f64 v[20:21], v[100:101], v[126:127]
	v_fma_f64 v[20:21], -0.5, v[20:21], v[110:111]
	v_add_f64 v[56:57], v[70:71], -v[80:81]
	v_fma_f64 v[24:25], s[10:11], v[56:57], v[20:21]
	v_fmac_f64_e32 v[20:21], s[4:5], v[56:57]
	v_add_f64 v[56:57], v[110:111], v[100:101]
	ds_read2_b64 v[142:145], v194 offset0:70 offset1:205
	v_add_f64 v[126:127], v[56:57], v[126:127]
	v_add_u32_e32 v56, v179, v132
	ds_read2_b64 v[130:133], v195 offset0:12 offset1:147
	ds_read_b64 v[56:57], v56
	s_mov_b32 s0, 0xc22e4507
	s_mov_b32 s1, 0xa000
	s_waitcnt vmcnt(3)
	v_mul_f64 v[70:71], v[6:7], v[118:119]
	s_waitcnt lgkmcnt(2)
	v_mul_f64 v[118:119], v[144:145], v[118:119]
	s_waitcnt vmcnt(2)
	v_mul_f64 v[80:81], v[2:3], v[104:105]
	v_fma_f64 v[70:71], v[116:117], v[144:145], -v[70:71]
	s_waitcnt lgkmcnt(1)
	v_fma_f64 v[80:81], v[102:103], v[132:133], -v[80:81]
	v_fmac_f64_e32 v[118:119], v[6:7], v[116:117]
	v_mul_f64 v[6:7], v[132:133], v[104:105]
	v_add_f64 v[100:101], v[70:71], v[80:81]
	v_fmac_f64_e32 v[6:7], v[2:3], v[102:103]
	s_waitcnt lgkmcnt(0)
	v_fma_f64 v[134:135], -0.5, v[100:101], v[56:57]
	v_add_f64 v[2:3], v[118:119], -v[6:7]
	v_fma_f64 v[102:103], s[4:5], v[2:3], v[134:135]
	v_fmac_f64_e32 v[134:135], s[10:11], v[2:3]
	v_add_f64 v[2:3], v[56:57], v[70:71]
	v_add_f64 v[110:111], v[2:3], v[80:81]
	;; [unrolled: 1-line block ×3, first 2 shown]
	v_fma_f64 v[132:133], -0.5, v[2:3], v[108:109]
	v_add_f64 v[2:3], v[70:71], -v[80:81]
	v_fma_f64 v[100:101], s[10:11], v[2:3], v[132:133]
	v_fmac_f64_e32 v[132:133], s[4:5], v[2:3]
	v_add_f64 v[2:3], v[108:109], v[118:119]
	v_add_f64 v[108:109], v[2:3], v[6:7]
	s_waitcnt vmcnt(1)
	v_mul_f64 v[2:3], v[4:5], v[96:97]
	s_waitcnt vmcnt(0)
	v_mul_f64 v[6:7], v[0:1], v[124:125]
	v_fma_f64 v[2:3], v[94:95], v[142:143], -v[2:3]
	v_fma_f64 v[56:57], v[122:123], v[130:131], -v[6:7]
	v_mul_f64 v[70:71], v[142:143], v[96:97]
	v_mul_f64 v[80:81], v[130:131], v[124:125]
	v_add_f64 v[6:7], v[2:3], v[56:57]
	v_fmac_f64_e32 v[70:71], v[4:5], v[94:95]
	v_fmac_f64_e32 v[80:81], v[0:1], v[122:123]
	v_fma_f64 v[6:7], -0.5, v[6:7], v[162:163]
	v_add_f64 v[0:1], v[70:71], -v[80:81]
	v_fma_f64 v[96:97], s[4:5], v[0:1], v[6:7]
	v_fmac_f64_e32 v[6:7], s[10:11], v[0:1]
	v_add_f64 v[0:1], v[162:163], v[2:3]
	v_add_f64 v[118:119], v[0:1], v[56:57]
	;; [unrolled: 1-line block ×3, first 2 shown]
	v_fma_f64 v[4:5], -0.5, v[0:1], v[106:107]
	v_add_f64 v[0:1], v[2:3], -v[56:57]
	v_fma_f64 v[94:95], s[10:11], v[0:1], v[4:5]
	v_fmac_f64_e32 v[4:5], s[4:5], v[0:1]
	v_add_f64 v[0:1], v[106:107], v[70:71]
	v_add_f64 v[116:117], v[0:1], v[80:81]
	v_mul_hi_u32 v0, v178, s0
	v_lshrrev_b32_e32 v0, 10, v0
	v_mul_u32_u24_e32 v0, 0x546, v0
	v_sub_u32_e32 v2, v178, v0
	v_lshl_add_u64 v[0:1], v[120:121], 4, s[6:7]
	v_lshl_add_u64 v[0:1], v[136:137], 4, v[0:1]
	v_lshlrev_b32_e32 v98, 4, v2
	v_lshl_add_u64 v[2:3], v[0:1], 0, v[98:99]
	v_add_co_u32_e32 v56, vcc, s12, v2
	global_store_dwordx4 v[2:3], v[116:119], off
	s_nop 0
	v_addc_co_u32_e32 v57, vcc, 0, v3, vcc
	v_add_co_u32_e32 v2, vcc, s1, v2
	global_store_dwordx4 v[56:57], v[4:7], off offset:1120
	s_nop 0
	v_addc_co_u32_e32 v3, vcc, 0, v3, vcc
	global_store_dwordx4 v[2:3], v[94:97], off offset:2240
	v_add_u32_e32 v2, 0x87, v178
	v_mul_hi_u32 v3, v2, s0
	v_lshrrev_b32_e32 v3, 10, v3
	v_mul_u32_u24_e32 v4, 0x546, v3
	v_sub_u32_e32 v2, v2, v4
	s_movk_i32 s1, 0xfd2
	v_mad_u32_u24 v98, v3, s1, v2
	v_lshl_add_u64 v[2:3], v[98:99], 4, v[0:1]
	global_store_dwordx4 v[2:3], v[108:111], off
	v_add_u32_e32 v2, 0x546, v98
	v_mov_b32_e32 v3, v99
	v_lshl_add_u64 v[2:3], v[2:3], 4, v[0:1]
	v_add_u32_e32 v98, 0xa8c, v98
	global_store_dwordx4 v[2:3], v[132:135], off
	v_lshl_add_u64 v[2:3], v[98:99], 4, v[0:1]
	global_store_dwordx4 v[2:3], v[100:103], off
	v_add_u32_e32 v2, 0x10e, v178
	v_mul_hi_u32 v3, v2, s0
	v_lshrrev_b32_e32 v3, 10, v3
	v_mul_u32_u24_e32 v4, 0x546, v3
	v_sub_u32_e32 v2, v2, v4
	v_mad_u32_u24 v98, v3, s1, v2
	v_lshl_add_u64 v[2:3], v[98:99], 4, v[0:1]
	global_store_dwordx4 v[2:3], v[126:129], off
	v_add_u32_e32 v2, 0x546, v98
	v_mov_b32_e32 v3, v99
	v_lshl_add_u64 v[2:3], v[2:3], 4, v[0:1]
	v_add_u32_e32 v98, 0xa8c, v98
	global_store_dwordx4 v[2:3], v[20:23], off
	v_lshl_add_u64 v[2:3], v[98:99], 4, v[0:1]
	global_store_dwordx4 v[2:3], v[24:27], off
	v_add_u32_e32 v2, 0x195, v178
	v_mul_hi_u32 v3, v2, s0
	v_lshrrev_b32_e32 v3, 10, v3
	v_mul_u32_u24_e32 v4, 0x546, v3
	v_sub_u32_e32 v2, v2, v4
	;; [unrolled: 15-line block ×8, first 2 shown]
	v_mad_u32_u24 v98, v3, s1, v2
	v_lshl_add_u64 v[2:3], v[98:99], 4, v[0:1]
	global_store_dwordx4 v[2:3], v[16:19], off
	v_add_u32_e32 v2, 0x546, v98
	v_mov_b32_e32 v3, v99
	v_add_u32_e32 v98, 0xa8c, v98
	v_lshl_add_u64 v[2:3], v[2:3], 4, v[0:1]
	v_lshl_add_u64 v[0:1], v[98:99], 4, v[0:1]
	global_store_dwordx4 v[2:3], v[12:15], off
	global_store_dwordx4 v[0:1], v[8:11], off
.LBB0_15:
	s_endpgm
	.section	.rodata,"a",@progbits
	.p2align	6, 0x0
	.amdhsa_kernel fft_rtc_back_len4050_factors_10_5_3_3_3_3_wgs_135_tpt_135_halfLds_dp_op_CI_CI_unitstride_sbrr_dirReg
		.amdhsa_group_segment_fixed_size 0
		.amdhsa_private_segment_fixed_size 0
		.amdhsa_kernarg_size 104
		.amdhsa_user_sgpr_count 2
		.amdhsa_user_sgpr_dispatch_ptr 0
		.amdhsa_user_sgpr_queue_ptr 0
		.amdhsa_user_sgpr_kernarg_segment_ptr 1
		.amdhsa_user_sgpr_dispatch_id 0
		.amdhsa_user_sgpr_kernarg_preload_length 0
		.amdhsa_user_sgpr_kernarg_preload_offset 0
		.amdhsa_user_sgpr_private_segment_size 0
		.amdhsa_uses_dynamic_stack 0
		.amdhsa_enable_private_segment 0
		.amdhsa_system_sgpr_workgroup_id_x 1
		.amdhsa_system_sgpr_workgroup_id_y 0
		.amdhsa_system_sgpr_workgroup_id_z 0
		.amdhsa_system_sgpr_workgroup_info 0
		.amdhsa_system_vgpr_workitem_id 0
		.amdhsa_next_free_vgpr 239
		.amdhsa_next_free_sgpr 28
		.amdhsa_accum_offset 240
		.amdhsa_reserve_vcc 1
		.amdhsa_float_round_mode_32 0
		.amdhsa_float_round_mode_16_64 0
		.amdhsa_float_denorm_mode_32 3
		.amdhsa_float_denorm_mode_16_64 3
		.amdhsa_dx10_clamp 1
		.amdhsa_ieee_mode 1
		.amdhsa_fp16_overflow 0
		.amdhsa_tg_split 0
		.amdhsa_exception_fp_ieee_invalid_op 0
		.amdhsa_exception_fp_denorm_src 0
		.amdhsa_exception_fp_ieee_div_zero 0
		.amdhsa_exception_fp_ieee_overflow 0
		.amdhsa_exception_fp_ieee_underflow 0
		.amdhsa_exception_fp_ieee_inexact 0
		.amdhsa_exception_int_div_zero 0
	.end_amdhsa_kernel
	.text
.Lfunc_end0:
	.size	fft_rtc_back_len4050_factors_10_5_3_3_3_3_wgs_135_tpt_135_halfLds_dp_op_CI_CI_unitstride_sbrr_dirReg, .Lfunc_end0-fft_rtc_back_len4050_factors_10_5_3_3_3_3_wgs_135_tpt_135_halfLds_dp_op_CI_CI_unitstride_sbrr_dirReg
                                        ; -- End function
	.section	.AMDGPU.csdata,"",@progbits
; Kernel info:
; codeLenInByte = 22308
; NumSgprs: 34
; NumVgprs: 239
; NumAgprs: 0
; TotalNumVgprs: 239
; ScratchSize: 0
; MemoryBound: 1
; FloatMode: 240
; IeeeMode: 1
; LDSByteSize: 0 bytes/workgroup (compile time only)
; SGPRBlocks: 4
; VGPRBlocks: 29
; NumSGPRsForWavesPerEU: 34
; NumVGPRsForWavesPerEU: 239
; AccumOffset: 240
; Occupancy: 2
; WaveLimiterHint : 1
; COMPUTE_PGM_RSRC2:SCRATCH_EN: 0
; COMPUTE_PGM_RSRC2:USER_SGPR: 2
; COMPUTE_PGM_RSRC2:TRAP_HANDLER: 0
; COMPUTE_PGM_RSRC2:TGID_X_EN: 1
; COMPUTE_PGM_RSRC2:TGID_Y_EN: 0
; COMPUTE_PGM_RSRC2:TGID_Z_EN: 0
; COMPUTE_PGM_RSRC2:TIDIG_COMP_CNT: 0
; COMPUTE_PGM_RSRC3_GFX90A:ACCUM_OFFSET: 59
; COMPUTE_PGM_RSRC3_GFX90A:TG_SPLIT: 0
	.text
	.p2alignl 6, 3212836864
	.fill 256, 4, 3212836864
	.type	__hip_cuid_20f6d02075917d44,@object ; @__hip_cuid_20f6d02075917d44
	.section	.bss,"aw",@nobits
	.globl	__hip_cuid_20f6d02075917d44
__hip_cuid_20f6d02075917d44:
	.byte	0                               ; 0x0
	.size	__hip_cuid_20f6d02075917d44, 1

	.ident	"AMD clang version 19.0.0git (https://github.com/RadeonOpenCompute/llvm-project roc-6.4.0 25133 c7fe45cf4b819c5991fe208aaa96edf142730f1d)"
	.section	".note.GNU-stack","",@progbits
	.addrsig
	.addrsig_sym __hip_cuid_20f6d02075917d44
	.amdgpu_metadata
---
amdhsa.kernels:
  - .agpr_count:     0
    .args:
      - .actual_access:  read_only
        .address_space:  global
        .offset:         0
        .size:           8
        .value_kind:     global_buffer
      - .offset:         8
        .size:           8
        .value_kind:     by_value
      - .actual_access:  read_only
        .address_space:  global
        .offset:         16
        .size:           8
        .value_kind:     global_buffer
      - .actual_access:  read_only
        .address_space:  global
        .offset:         24
        .size:           8
        .value_kind:     global_buffer
      - .actual_access:  read_only
        .address_space:  global
        .offset:         32
        .size:           8
        .value_kind:     global_buffer
      - .offset:         40
        .size:           8
        .value_kind:     by_value
      - .actual_access:  read_only
        .address_space:  global
        .offset:         48
        .size:           8
        .value_kind:     global_buffer
      - .actual_access:  read_only
        .address_space:  global
        .offset:         56
        .size:           8
        .value_kind:     global_buffer
      - .offset:         64
        .size:           4
        .value_kind:     by_value
      - .actual_access:  read_only
        .address_space:  global
        .offset:         72
        .size:           8
        .value_kind:     global_buffer
      - .actual_access:  read_only
        .address_space:  global
        .offset:         80
        .size:           8
        .value_kind:     global_buffer
      - .actual_access:  read_only
        .address_space:  global
        .offset:         88
        .size:           8
        .value_kind:     global_buffer
      - .actual_access:  write_only
        .address_space:  global
        .offset:         96
        .size:           8
        .value_kind:     global_buffer
    .group_segment_fixed_size: 0
    .kernarg_segment_align: 8
    .kernarg_segment_size: 104
    .language:       OpenCL C
    .language_version:
      - 2
      - 0
    .max_flat_workgroup_size: 135
    .name:           fft_rtc_back_len4050_factors_10_5_3_3_3_3_wgs_135_tpt_135_halfLds_dp_op_CI_CI_unitstride_sbrr_dirReg
    .private_segment_fixed_size: 0
    .sgpr_count:     34
    .sgpr_spill_count: 0
    .symbol:         fft_rtc_back_len4050_factors_10_5_3_3_3_3_wgs_135_tpt_135_halfLds_dp_op_CI_CI_unitstride_sbrr_dirReg.kd
    .uniform_work_group_size: 1
    .uses_dynamic_stack: false
    .vgpr_count:     239
    .vgpr_spill_count: 0
    .wavefront_size: 64
amdhsa.target:   amdgcn-amd-amdhsa--gfx950
amdhsa.version:
  - 1
  - 2
...

	.end_amdgpu_metadata
